;; amdgpu-corpus repo=ROCm/composable_kernel kind=compiled arch=gfx1100 opt=O3
	.text
	.amdgcn_target "amdgcn-amd-amdhsa--gfx1100"
	.amdhsa_code_object_version 6
	.section	.text._ZN2ckL12flush_icacheEv,"axG",@progbits,_ZN2ckL12flush_icacheEv,comdat
	.globl	_ZN2ckL12flush_icacheEv         ; -- Begin function _ZN2ckL12flush_icacheEv
	.p2align	8
	.type	_ZN2ckL12flush_icacheEv,@function
_ZN2ckL12flush_icacheEv:                ; @_ZN2ckL12flush_icacheEv
; %bb.0:
	;;#ASMSTART
	s_icache_inv 
	s_nop 0 
	s_nop 0 
	;; [unrolled: 1-line block ×16, first 2 shown]
	
	;;#ASMEND
	s_endpgm
	.section	.rodata,"a",@progbits
	.p2align	6, 0x0
	.amdhsa_kernel _ZN2ckL12flush_icacheEv
		.amdhsa_group_segment_fixed_size 0
		.amdhsa_private_segment_fixed_size 0
		.amdhsa_kernarg_size 0
		.amdhsa_user_sgpr_count 15
		.amdhsa_user_sgpr_dispatch_ptr 0
		.amdhsa_user_sgpr_queue_ptr 0
		.amdhsa_user_sgpr_kernarg_segment_ptr 0
		.amdhsa_user_sgpr_dispatch_id 0
		.amdhsa_user_sgpr_private_segment_size 0
		.amdhsa_wavefront_size32 1
		.amdhsa_uses_dynamic_stack 0
		.amdhsa_enable_private_segment 0
		.amdhsa_system_sgpr_workgroup_id_x 1
		.amdhsa_system_sgpr_workgroup_id_y 0
		.amdhsa_system_sgpr_workgroup_id_z 0
		.amdhsa_system_sgpr_workgroup_info 0
		.amdhsa_system_vgpr_workitem_id 0
		.amdhsa_next_free_vgpr 1
		.amdhsa_next_free_sgpr 1
		.amdhsa_reserve_vcc 0
		.amdhsa_float_round_mode_32 0
		.amdhsa_float_round_mode_16_64 0
		.amdhsa_float_denorm_mode_32 3
		.amdhsa_float_denorm_mode_16_64 3
		.amdhsa_dx10_clamp 1
		.amdhsa_ieee_mode 1
		.amdhsa_fp16_overflow 0
		.amdhsa_workgroup_processor_mode 1
		.amdhsa_memory_ordered 1
		.amdhsa_forward_progress 0
		.amdhsa_shared_vgpr_count 0
		.amdhsa_exception_fp_ieee_invalid_op 0
		.amdhsa_exception_fp_denorm_src 0
		.amdhsa_exception_fp_ieee_div_zero 0
		.amdhsa_exception_fp_ieee_overflow 0
		.amdhsa_exception_fp_ieee_underflow 0
		.amdhsa_exception_fp_ieee_inexact 0
		.amdhsa_exception_int_div_zero 0
	.end_amdhsa_kernel
	.section	.text._ZN2ckL12flush_icacheEv,"axG",@progbits,_ZN2ckL12flush_icacheEv,comdat
.Lfunc_end0:
	.size	_ZN2ckL12flush_icacheEv, .Lfunc_end0-_ZN2ckL12flush_icacheEv
                                        ; -- End function
	.section	.AMDGPU.csdata,"",@progbits
; Kernel info:
; codeLenInByte = 344
; NumSgprs: 0
; NumVgprs: 0
; ScratchSize: 0
; MemoryBound: 0
; FloatMode: 240
; IeeeMode: 1
; LDSByteSize: 0 bytes/workgroup (compile time only)
; SGPRBlocks: 0
; VGPRBlocks: 0
; NumSGPRsForWavesPerEU: 1
; NumVGPRsForWavesPerEU: 1
; Occupancy: 16
; WaveLimiterHint : 0
; COMPUTE_PGM_RSRC2:SCRATCH_EN: 0
; COMPUTE_PGM_RSRC2:USER_SGPR: 15
; COMPUTE_PGM_RSRC2:TRAP_HANDLER: 0
; COMPUTE_PGM_RSRC2:TGID_X_EN: 1
; COMPUTE_PGM_RSRC2:TGID_Y_EN: 0
; COMPUTE_PGM_RSRC2:TGID_Z_EN: 0
; COMPUTE_PGM_RSRC2:TIDIG_COMP_CNT: 0
	.text
	.p2align	2                               ; -- Begin function _ZN2ck32GridwiseGemmDlMultipleD_km_kn_mnILi256EffNS_5TupleIJfEEEfNS_16tensor_operation12element_wise11PassThroughES5_NS4_7AddReluELNS_25InMemoryDataOperationEnumE0ENS_16TensorDescriptorINS1_IJNS_5EmbedINS1_IJiiiEEESA_Lb0EEENS_11PassThroughIiEENS_3PadIiiiLb0EEESD_SD_NS9_INS1_IJiiEEESG_Lb0EEESD_NS_23Merge_v2_magic_divisionISG_EESJ_NS_8RightPadIiiLb0EEESL_NS_7UnMergeISG_Lb0EEESD_EEENS1_IJNS_8SequenceIJLi0EEEENSP_IJLi1EEEENSP_IJLi2EEEENSP_IJLi3EEEENSP_IJLi4EEEENSP_IJLi5EEEENSP_IJLi6EEEENSP_IJLi7ELi9EEEENSP_IJLi8ELi10EEEENSP_IJLi11EEEENSP_IJLi12EEEENSP_IJLi14EEEENSP_IJLi13EEEEEEENS1_IJNSP_IJLi1ELi2ELi3EEEESU_SV_SW_NSP_IJLi7EEEENSP_IJLi8ELi9EEEENSP_IJLi10EEEESZ_S10_S12_S11_NSP_IJLi15ELi16EEEENSP_IJLi17EEEEEEENSP_IJLi15ELi17ELi16EEEElEENS8_INS1_IJSN_SL_SL_SN_SD_EEENS1_IJSQ_SR_SS_SU_ST_EEENS1_IJNSP_IJLi1ELi2EEEEST_SU_NSP_IJLi5ELi6EEEES15_EEENSP_IJLi5ELi7ELi6EEEElEENS8_INS1_IJSH_SL_SL_EEENS1_IJSQ_SR_SS_EEENS1_IJS1F_ST_SU_EEENSP_IJLi3ELi4EEEElEELi128ELi128ELi16ELi1ELi4ELi4ELi1ENSP_IJLi8ELi2EEEES1P_NSP_IJLi8ELi1ELi1ELi1EEEENSP_IJLi2ELi1ELi128ELi1EEEENSP_IJLi1ELi2ELi0ELi3EEEES1S_NSP_IJLi4ELi1ELi1ELi1EEEES1S_NSP_IJLi1ELi1ELi1ELi1EEEES1Q_S1R_S1S_S1S_S1T_S1S_S1U_NSP_IJLi0ELi1ELi2ELi3ELi4ELi5EEEELi5ELi4EE3RunINS1_IJNS8_INS1_IJSH_SL_SL_NSM_INS1_IJiNS_17integral_constantIiLi2EEENS1Y_IiLi64EEEEEELb0EEES22_EEENS1_IJSQ_SR_SS_ST_SU_EEENS1_IJS1F_ST_SU_NSP_IJLi5ELi6ELi7EEEENSP_IJLi8ELi9ELi10EEEEEEENSP_IJLi5ELi6ELi7ELi8ELi9ELi10EEEElEEEEELb1ELb1ENS_31BlockToCTileMap_M00_N00_M01_N01ILi128ELi128ES1O_Lb0EEEEEvPKfS2E_NS1_IJS2E_EEEPfPvRKS5_S2J_RKS6_RKNS8_INS1_IJSB_SD_SF_SD_SD_SH_SD_SJ_SJ_SL_SL_SN_SD_SD_NSM_INS1_IJiNS1Y_IiLi128EEEEEELb0EEENSC_INS1Y_IiLi1EEEEEEEENS1_IJSQ_SR_SS_ST_SU_SV_SW_SX_SY_SZ_S10_S11_S12_NSP_IJLi15EEEES19_NSP_IJLi16EEEEEEENS1_IJS14_SU_SV_SW_S15_S16_S17_SZ_S10_S12_S11_S18_S19_NSP_IJLi18EEEENSP_IJLi19ELi20EEEENSP_IJLi21EEEEEEENSP_IJLi18ELi19ELi20ELi21EEEElEERKNS8_INS1_IJSN_SL_SL_SN_SD_SD_S2O_S2Q_EEENS1_IJSQ_SR_SS_SU_ST_SV_S15_SW_EEENS1_IJS1F_ST_SU_S1G_S15_NSP_IJLi8EEEENSP_IJLi9ELi10EEEESZ_EEENSP_IJLi8ELi9ELi10ELi11EEEElEERKT_RKS29_RKT2_NS1Y_IbXT0_EEENS1Y_IbXT1_EEE
	.type	_ZN2ck32GridwiseGemmDlMultipleD_km_kn_mnILi256EffNS_5TupleIJfEEEfNS_16tensor_operation12element_wise11PassThroughES5_NS4_7AddReluELNS_25InMemoryDataOperationEnumE0ENS_16TensorDescriptorINS1_IJNS_5EmbedINS1_IJiiiEEESA_Lb0EEENS_11PassThroughIiEENS_3PadIiiiLb0EEESD_SD_NS9_INS1_IJiiEEESG_Lb0EEESD_NS_23Merge_v2_magic_divisionISG_EESJ_NS_8RightPadIiiLb0EEESL_NS_7UnMergeISG_Lb0EEESD_EEENS1_IJNS_8SequenceIJLi0EEEENSP_IJLi1EEEENSP_IJLi2EEEENSP_IJLi3EEEENSP_IJLi4EEEENSP_IJLi5EEEENSP_IJLi6EEEENSP_IJLi7ELi9EEEENSP_IJLi8ELi10EEEENSP_IJLi11EEEENSP_IJLi12EEEENSP_IJLi14EEEENSP_IJLi13EEEEEEENS1_IJNSP_IJLi1ELi2ELi3EEEESU_SV_SW_NSP_IJLi7EEEENSP_IJLi8ELi9EEEENSP_IJLi10EEEESZ_S10_S12_S11_NSP_IJLi15ELi16EEEENSP_IJLi17EEEEEEENSP_IJLi15ELi17ELi16EEEElEENS8_INS1_IJSN_SL_SL_SN_SD_EEENS1_IJSQ_SR_SS_SU_ST_EEENS1_IJNSP_IJLi1ELi2EEEEST_SU_NSP_IJLi5ELi6EEEES15_EEENSP_IJLi5ELi7ELi6EEEElEENS8_INS1_IJSH_SL_SL_EEENS1_IJSQ_SR_SS_EEENS1_IJS1F_ST_SU_EEENSP_IJLi3ELi4EEEElEELi128ELi128ELi16ELi1ELi4ELi4ELi1ENSP_IJLi8ELi2EEEES1P_NSP_IJLi8ELi1ELi1ELi1EEEENSP_IJLi2ELi1ELi128ELi1EEEENSP_IJLi1ELi2ELi0ELi3EEEES1S_NSP_IJLi4ELi1ELi1ELi1EEEES1S_NSP_IJLi1ELi1ELi1ELi1EEEES1Q_S1R_S1S_S1S_S1T_S1S_S1U_NSP_IJLi0ELi1ELi2ELi3ELi4ELi5EEEELi5ELi4EE3RunINS1_IJNS8_INS1_IJSH_SL_SL_NSM_INS1_IJiNS_17integral_constantIiLi2EEENS1Y_IiLi64EEEEEELb0EEES22_EEENS1_IJSQ_SR_SS_ST_SU_EEENS1_IJS1F_ST_SU_NSP_IJLi5ELi6ELi7EEEENSP_IJLi8ELi9ELi10EEEEEEENSP_IJLi5ELi6ELi7ELi8ELi9ELi10EEEElEEEEELb1ELb1ENS_31BlockToCTileMap_M00_N00_M01_N01ILi128ELi128ES1O_Lb0EEEEEvPKfS2E_NS1_IJS2E_EEEPfPvRKS5_S2J_RKS6_RKNS8_INS1_IJSB_SD_SF_SD_SD_SH_SD_SJ_SJ_SL_SL_SN_SD_SD_NSM_INS1_IJiNS1Y_IiLi128EEEEEELb0EEENSC_INS1Y_IiLi1EEEEEEEENS1_IJSQ_SR_SS_ST_SU_SV_SW_SX_SY_SZ_S10_S11_S12_NSP_IJLi15EEEES19_NSP_IJLi16EEEEEEENS1_IJS14_SU_SV_SW_S15_S16_S17_SZ_S10_S12_S11_S18_S19_NSP_IJLi18EEEENSP_IJLi19ELi20EEEENSP_IJLi21EEEEEEENSP_IJLi18ELi19ELi20ELi21EEEElEERKNS8_INS1_IJSN_SL_SL_SN_SD_SD_S2O_S2Q_EEENS1_IJSQ_SR_SS_SU_ST_SV_S15_SW_EEENS1_IJS1F_ST_SU_S1G_S15_NSP_IJLi8EEEENSP_IJLi9ELi10EEEESZ_EEENSP_IJLi8ELi9ELi10ELi11EEEElEERKT_RKS29_RKT2_NS1Y_IbXT0_EEENS1Y_IbXT1_EEE,@function
_ZN2ck32GridwiseGemmDlMultipleD_km_kn_mnILi256EffNS_5TupleIJfEEEfNS_16tensor_operation12element_wise11PassThroughES5_NS4_7AddReluELNS_25InMemoryDataOperationEnumE0ENS_16TensorDescriptorINS1_IJNS_5EmbedINS1_IJiiiEEESA_Lb0EEENS_11PassThroughIiEENS_3PadIiiiLb0EEESD_SD_NS9_INS1_IJiiEEESG_Lb0EEESD_NS_23Merge_v2_magic_divisionISG_EESJ_NS_8RightPadIiiLb0EEESL_NS_7UnMergeISG_Lb0EEESD_EEENS1_IJNS_8SequenceIJLi0EEEENSP_IJLi1EEEENSP_IJLi2EEEENSP_IJLi3EEEENSP_IJLi4EEEENSP_IJLi5EEEENSP_IJLi6EEEENSP_IJLi7ELi9EEEENSP_IJLi8ELi10EEEENSP_IJLi11EEEENSP_IJLi12EEEENSP_IJLi14EEEENSP_IJLi13EEEEEEENS1_IJNSP_IJLi1ELi2ELi3EEEESU_SV_SW_NSP_IJLi7EEEENSP_IJLi8ELi9EEEENSP_IJLi10EEEESZ_S10_S12_S11_NSP_IJLi15ELi16EEEENSP_IJLi17EEEEEEENSP_IJLi15ELi17ELi16EEEElEENS8_INS1_IJSN_SL_SL_SN_SD_EEENS1_IJSQ_SR_SS_SU_ST_EEENS1_IJNSP_IJLi1ELi2EEEEST_SU_NSP_IJLi5ELi6EEEES15_EEENSP_IJLi5ELi7ELi6EEEElEENS8_INS1_IJSH_SL_SL_EEENS1_IJSQ_SR_SS_EEENS1_IJS1F_ST_SU_EEENSP_IJLi3ELi4EEEElEELi128ELi128ELi16ELi1ELi4ELi4ELi1ENSP_IJLi8ELi2EEEES1P_NSP_IJLi8ELi1ELi1ELi1EEEENSP_IJLi2ELi1ELi128ELi1EEEENSP_IJLi1ELi2ELi0ELi3EEEES1S_NSP_IJLi4ELi1ELi1ELi1EEEES1S_NSP_IJLi1ELi1ELi1ELi1EEEES1Q_S1R_S1S_S1S_S1T_S1S_S1U_NSP_IJLi0ELi1ELi2ELi3ELi4ELi5EEEELi5ELi4EE3RunINS1_IJNS8_INS1_IJSH_SL_SL_NSM_INS1_IJiNS_17integral_constantIiLi2EEENS1Y_IiLi64EEEEEELb0EEES22_EEENS1_IJSQ_SR_SS_ST_SU_EEENS1_IJS1F_ST_SU_NSP_IJLi5ELi6ELi7EEEENSP_IJLi8ELi9ELi10EEEEEEENSP_IJLi5ELi6ELi7ELi8ELi9ELi10EEEElEEEEELb1ELb1ENS_31BlockToCTileMap_M00_N00_M01_N01ILi128ELi128ES1O_Lb0EEEEEvPKfS2E_NS1_IJS2E_EEEPfPvRKS5_S2J_RKS6_RKNS8_INS1_IJSB_SD_SF_SD_SD_SH_SD_SJ_SJ_SL_SL_SN_SD_SD_NSM_INS1_IJiNS1Y_IiLi128EEEEEELb0EEENSC_INS1Y_IiLi1EEEEEEEENS1_IJSQ_SR_SS_ST_SU_SV_SW_SX_SY_SZ_S10_S11_S12_NSP_IJLi15EEEES19_NSP_IJLi16EEEEEEENS1_IJS14_SU_SV_SW_S15_S16_S17_SZ_S10_S12_S11_S18_S19_NSP_IJLi18EEEENSP_IJLi19ELi20EEEENSP_IJLi21EEEEEEENSP_IJLi18ELi19ELi20ELi21EEEElEERKNS8_INS1_IJSN_SL_SL_SN_SD_SD_S2O_S2Q_EEENS1_IJSQ_SR_SS_SU_ST_SV_S15_SW_EEENS1_IJS1F_ST_SU_S1G_S15_NSP_IJLi8EEEENSP_IJLi9ELi10EEEESZ_EEENSP_IJLi8ELi9ELi10ELi11EEEElEERKT_RKS29_RKT2_NS1Y_IbXT0_EEENS1Y_IbXT1_EEE: ; @_ZN2ck32GridwiseGemmDlMultipleD_km_kn_mnILi256EffNS_5TupleIJfEEEfNS_16tensor_operation12element_wise11PassThroughES5_NS4_7AddReluELNS_25InMemoryDataOperationEnumE0ENS_16TensorDescriptorINS1_IJNS_5EmbedINS1_IJiiiEEESA_Lb0EEENS_11PassThroughIiEENS_3PadIiiiLb0EEESD_SD_NS9_INS1_IJiiEEESG_Lb0EEESD_NS_23Merge_v2_magic_divisionISG_EESJ_NS_8RightPadIiiLb0EEESL_NS_7UnMergeISG_Lb0EEESD_EEENS1_IJNS_8SequenceIJLi0EEEENSP_IJLi1EEEENSP_IJLi2EEEENSP_IJLi3EEEENSP_IJLi4EEEENSP_IJLi5EEEENSP_IJLi6EEEENSP_IJLi7ELi9EEEENSP_IJLi8ELi10EEEENSP_IJLi11EEEENSP_IJLi12EEEENSP_IJLi14EEEENSP_IJLi13EEEEEEENS1_IJNSP_IJLi1ELi2ELi3EEEESU_SV_SW_NSP_IJLi7EEEENSP_IJLi8ELi9EEEENSP_IJLi10EEEESZ_S10_S12_S11_NSP_IJLi15ELi16EEEENSP_IJLi17EEEEEEENSP_IJLi15ELi17ELi16EEEElEENS8_INS1_IJSN_SL_SL_SN_SD_EEENS1_IJSQ_SR_SS_SU_ST_EEENS1_IJNSP_IJLi1ELi2EEEEST_SU_NSP_IJLi5ELi6EEEES15_EEENSP_IJLi5ELi7ELi6EEEElEENS8_INS1_IJSH_SL_SL_EEENS1_IJSQ_SR_SS_EEENS1_IJS1F_ST_SU_EEENSP_IJLi3ELi4EEEElEELi128ELi128ELi16ELi1ELi4ELi4ELi1ENSP_IJLi8ELi2EEEES1P_NSP_IJLi8ELi1ELi1ELi1EEEENSP_IJLi2ELi1ELi128ELi1EEEENSP_IJLi1ELi2ELi0ELi3EEEES1S_NSP_IJLi4ELi1ELi1ELi1EEEES1S_NSP_IJLi1ELi1ELi1ELi1EEEES1Q_S1R_S1S_S1S_S1T_S1S_S1U_NSP_IJLi0ELi1ELi2ELi3ELi4ELi5EEEELi5ELi4EE3RunINS1_IJNS8_INS1_IJSH_SL_SL_NSM_INS1_IJiNS_17integral_constantIiLi2EEENS1Y_IiLi64EEEEEELb0EEES22_EEENS1_IJSQ_SR_SS_ST_SU_EEENS1_IJS1F_ST_SU_NSP_IJLi5ELi6ELi7EEEENSP_IJLi8ELi9ELi10EEEEEEENSP_IJLi5ELi6ELi7ELi8ELi9ELi10EEEElEEEEELb1ELb1ENS_31BlockToCTileMap_M00_N00_M01_N01ILi128ELi128ES1O_Lb0EEEEEvPKfS2E_NS1_IJS2E_EEEPfPvRKS5_S2J_RKS6_RKNS8_INS1_IJSB_SD_SF_SD_SD_SH_SD_SJ_SJ_SL_SL_SN_SD_SD_NSM_INS1_IJiNS1Y_IiLi128EEEEEELb0EEENSC_INS1Y_IiLi1EEEEEEEENS1_IJSQ_SR_SS_ST_SU_SV_SW_SX_SY_SZ_S10_S11_S12_NSP_IJLi15EEEES19_NSP_IJLi16EEEEEEENS1_IJS14_SU_SV_SW_S15_S16_S17_SZ_S10_S12_S11_S18_S19_NSP_IJLi18EEEENSP_IJLi19ELi20EEEENSP_IJLi21EEEEEEENSP_IJLi18ELi19ELi20ELi21EEEElEERKNS8_INS1_IJSN_SL_SL_SN_SD_SD_S2O_S2Q_EEENS1_IJSQ_SR_SS_SU_ST_SV_S15_SW_EEENS1_IJS1F_ST_SU_S1G_S15_NSP_IJLi8EEEENSP_IJLi9ELi10EEEESZ_EEENSP_IJLi8ELi9ELi10ELi11EEEElEERKT_RKS29_RKT2_NS1Y_IbXT0_EEENS1Y_IbXT1_EEE
; %bb.0:
	s_waitcnt vmcnt(0) expcnt(0) lgkmcnt(0)
	v_dual_mov_b32 v21, v5 :: v_dual_mov_b32 v20, v4
	v_dual_mov_b32 v23, v1 :: v_dual_mov_b32 v22, v0
	s_clause 0x3
	flat_load_b128 v[48:51], v[16:17] offset:68
	flat_load_b128 v[52:55], v[16:17] offset:88
	;; [unrolled: 1-line block ×3, first 2 shown]
	flat_load_b32 v18, v[16:17] offset:20
	s_clause 0x8
	flat_load_b32 v1, v[8:9] offset:156
	flat_load_b32 v19, v[8:9] offset:80
	;; [unrolled: 1-line block ×6, first 2 shown]
	flat_load_b64 v[4:5], v[8:9] offset:56
	flat_load_b32 v70, v[8:9] offset:128
	flat_load_b32 v39, v[8:9] offset:100
	;; [unrolled: 1-line block ×4, first 2 shown]
	s_clause 0x2
	flat_load_b96 v[25:27], v[8:9] offset:28
	flat_load_b96 v[28:30], v[8:9] offset:12
	flat_load_b32 v38, v[8:9] offset:140
	flat_load_b32 v71, v[10:11] offset:8
	;; [unrolled: 1-line block ×4, first 2 shown]
	flat_load_b64 v[116:117], v[14:15] offset:72
	v_and_b32_e32 v31, 0x3ff, v31
	s_mov_b32 s10, 0
	s_mov_b32 s3, exec_lo
	s_waitcnt vmcnt(21) lgkmcnt(21)
	v_mul_hi_u32 v0, v51, s12
	s_delay_alu instid0(VALU_DEP_1) | instskip(SKIP_1) | instid1(VALU_DEP_1)
	v_add_nc_u32_e32 v0, s12, v0
	s_waitcnt vmcnt(20) lgkmcnt(20)
	v_lshrrev_b32_e32 v51, v55, v0
	s_delay_alu instid0(VALU_DEP_1) | instskip(NEXT) | instid1(VALU_DEP_1)
	v_mul_hi_u32 v0, v51, v50
	v_add_nc_u32_e32 v0, v51, v0
	s_delay_alu instid0(VALU_DEP_1) | instskip(NEXT) | instid1(VALU_DEP_1)
	v_lshrrev_b32_e32 v50, v54, v0
	v_mul_hi_u32 v0, v50, v49
	s_waitcnt vmcnt(19) lgkmcnt(19)
	v_mul_lo_u32 v16, v50, v66
	s_delay_alu instid0(VALU_DEP_2) | instskip(NEXT) | instid1(VALU_DEP_1)
	v_add_nc_u32_e32 v0, v50, v0
	v_lshrrev_b32_e32 v53, v53, v0
	s_delay_alu instid0(VALU_DEP_1) | instskip(NEXT) | instid1(VALU_DEP_1)
	v_mul_hi_u32 v0, v53, v48
	v_add_nc_u32_e32 v0, v53, v0
	s_delay_alu instid0(VALU_DEP_1) | instskip(NEXT) | instid1(VALU_DEP_1)
	v_lshrrev_b32_e32 v0, v52, v0
	v_mul_lo_u32 v17, v0, v64
	v_sub_nc_u32_e32 v0, v51, v16
	s_delay_alu instid0(VALU_DEP_2) | instskip(SKIP_1) | instid1(VALU_DEP_1)
	v_sub_nc_u32_e32 v33, v53, v17
	s_waitcnt vmcnt(17) lgkmcnt(17)
	v_mad_u64_u32 v[16:17], null, v33, v18, v[0:1]
	v_lshlrev_b32_e32 v0, 3, v31
	v_lshrrev_b32_e32 v33, 1, v31
	v_lshlrev_b32_e32 v17, 1, v31
	s_delay_alu instid0(VALU_DEP_3) | instskip(SKIP_1) | instid1(VALU_DEP_3)
	v_and_b32_e32 v113, 8, v0
	v_readfirstlane_b32 s8, v16
	v_and_b32_e32 v52, 0x1f8, v17
	v_and_b32_e32 v54, 0x1fc, v17
	s_delay_alu instid0(VALU_DEP_4) | instskip(NEXT) | instid1(VALU_DEP_4)
	v_mul_lo_u32 v48, v1, v113
	v_lshl_or_b32 v166, s8, 7, v33
	s_waitcnt vmcnt(16) lgkmcnt(16)
	s_delay_alu instid0(VALU_DEP_1) | instskip(SKIP_2) | instid1(VALU_DEP_4)
	v_mul_hi_u32 v0, v19, v166
	v_lshrrev_b32_e32 v19, 5, v31
	s_waitcnt vmcnt(15) lgkmcnt(15)
	v_mul_hi_u32 v16, v48, v36
	s_waitcnt vmcnt(4) lgkmcnt(4)
	v_cmp_lt_i32_e64 s1, v48, v38
	v_lshlrev_b32_e32 v18, 6, v19
	v_add_nc_u32_e32 v0, v166, v0
	s_delay_alu instid0(VALU_DEP_4) | instskip(NEXT) | instid1(VALU_DEP_3)
	v_add_nc_u32_e32 v16, v48, v16
	v_sub_nc_u32_e32 v55, v52, v18
	s_delay_alu instid0(VALU_DEP_3) | instskip(NEXT) | instid1(VALU_DEP_3)
	v_lshrrev_b32_e32 v24, v24, v0
	v_lshrrev_b32_e32 v49, v37, v16
	s_delay_alu instid0(VALU_DEP_2) | instskip(SKIP_2) | instid1(VALU_DEP_4)
	v_mul_lo_u32 v16, v24, v32
	v_mul_lo_u32 v32, v51, v67
	;; [unrolled: 1-line block ×4, first 2 shown]
	v_lshlrev_b32_e32 v53, 2, v31
	v_mul_lo_u32 v24, v24, v28
	v_sub_nc_u32_e32 v17, v166, v16
	v_sub_nc_u32_e32 v16, s12, v32
	;; [unrolled: 1-line block ×3, first 2 shown]
	v_mul_lo_u32 v51, v49, v39
	s_delay_alu instid0(VALU_DEP_4) | instskip(NEXT) | instid1(VALU_DEP_3)
	v_mad_u64_u32 v[31:32], null, v17, v5, v[0:1]
	v_mad_u64_u32 v[17:18], null, v50, v68, v[16:17]
	v_sub_nc_u32_e32 v5, v25, v27
	v_mov_b32_e32 v25, 0x31004000
	v_sub_nc_u32_e32 v32, v48, v51
	v_mul_lo_u32 v0, v34, v113
	v_sub_nc_u32_e32 v18, v31, v26
	v_cmp_ge_i32_e32 vcc_lo, v31, v26
	v_readfirstlane_b32 s9, v17
	v_mul_lo_u32 v17, v30, v32
	v_cmp_gt_i32_e64 s0, v5, v31
	v_mul_lo_u32 v18, v18, v29
	v_sub_nc_u32_e32 v16, v54, v52
	v_lshl_or_b32 v165, s9, 7, v33
	v_and_or_b32 v68, v53, 4, v55
	s_and_b32 s0, vcc_lo, s0
	v_cmp_lt_i32_e32 vcc_lo, v166, v70
	v_lshl_add_u32 v69, v19, 3, v16
	s_waitcnt vmcnt(3) lgkmcnt(3)
	v_mad_u64_u32 v[27:28], null, v71, v165, v[0:1]
	v_add3_u32 v50, v17, v24, v18
	s_waitcnt vmcnt(2) lgkmcnt(2)
	v_lshlrev_b32_e32 v24, 2, v80
	s_and_b32 s0, s1, s0
	s_delay_alu instid0(SALU_CYCLE_1)
	s_and_b32 s0, vcc_lo, s0
	v_lshlrev_b32_e32 v28, 2, v50
.LBB1_1:                                ; =>This Inner Loop Header: Depth=1
	v_readfirstlane_b32 s4, v22
	v_readfirstlane_b32 s5, v23
	;; [unrolled: 1-line block ×4, first 2 shown]
	s_delay_alu instid0(VALU_DEP_3) | instskip(NEXT) | instid1(VALU_DEP_2)
	v_cmp_eq_u64_e64 s1, s[4:5], v[22:23]
	v_cmp_eq_u64_e64 s2, s[6:7], v[24:25]
	s_delay_alu instid0(VALU_DEP_1) | instskip(NEXT) | instid1(SALU_CYCLE_1)
	s_and_b32 s1, s1, s2
	s_and_saveexec_b32 s1, s1
	buffer_load_b128 v[16:19], v28, s[4:7], 0 offen
                                        ; implicit-def: $vgpr28
	s_xor_b32 exec_lo, exec_lo, s1
	s_cbranch_execnz .LBB1_1
; %bb.2:
	s_mov_b32 exec_lo, s3
	v_lshl_add_u32 v180, v1, 2, v48
	s_waitcnt vmcnt(0)
	v_cndmask_b32_e64 v128, 0, v18, s0
	v_cndmask_b32_e64 v163, 0, v16, s0
	s_delay_alu instid0(VALU_DEP_3) | instskip(SKIP_1) | instid1(VALU_DEP_2)
	v_mul_hi_u32 v1, v36, v180
	v_cmp_lt_i32_e64 s3, v180, v38
	v_add_nc_u32_e32 v1, v180, v1
	s_delay_alu instid0(VALU_DEP_1) | instskip(NEXT) | instid1(VALU_DEP_1)
	v_lshrrev_b32_e32 v177, v37, v1
	v_mul_lo_u32 v1, v177, v39
	v_sub_nc_u32_e32 v28, v177, v49
	s_delay_alu instid0(VALU_DEP_2) | instskip(NEXT) | instid1(VALU_DEP_2)
	v_sub_nc_u32_e32 v178, v180, v1
	v_mul_lo_u32 v1, v28, v4
	v_cndmask_b32_e64 v28, 0, v19, s0
	s_delay_alu instid0(VALU_DEP_3) | instskip(NEXT) | instid1(VALU_DEP_3)
	v_sub_nc_u32_e32 v4, v178, v32
	v_mul_lo_u32 v29, v1, v29
	s_delay_alu instid0(VALU_DEP_2) | instskip(SKIP_1) | instid1(VALU_DEP_1)
	v_mul_lo_u32 v4, v30, v4
	v_add_nc_u32_e32 v1, v31, v1
	v_cmp_le_i32_e64 s1, v26, v1
	v_cmp_gt_i32_e64 s2, v5, v1
	s_delay_alu instid0(VALU_DEP_4) | instskip(SKIP_1) | instid1(VALU_DEP_3)
	v_add3_u32 v179, v4, v29, v50
	v_cndmask_b32_e64 v26, 0, v17, s0
	s_and_b32 s0, s1, s2
	s_delay_alu instid0(VALU_DEP_2)
	v_lshlrev_b32_e32 v4, 2, v179
	s_and_b32 s0, s3, s0
	s_mov_b32 s2, exec_lo
	s_and_b32 vcc_lo, vcc_lo, s0
.LBB1_3:                                ; =>This Inner Loop Header: Depth=1
	v_readfirstlane_b32 s4, v22
	v_readfirstlane_b32 s5, v23
	;; [unrolled: 1-line block ×4, first 2 shown]
	s_delay_alu instid0(VALU_DEP_3) | instskip(NEXT) | instid1(VALU_DEP_2)
	v_cmp_eq_u64_e64 s0, s[4:5], v[22:23]
	v_cmp_eq_u64_e64 s1, s[6:7], v[24:25]
	s_delay_alu instid0(VALU_DEP_1) | instskip(NEXT) | instid1(SALU_CYCLE_1)
	s_and_b32 s0, s0, s1
	s_and_saveexec_b32 s0, s0
	buffer_load_b128 v[16:19], v4, s[4:7], 0 offen
                                        ; implicit-def: $vgpr4
	s_xor_b32 exec_lo, exec_lo, s0
	s_cbranch_execnz .LBB1_3
; %bb.4:
	s_mov_b32 exec_lo, s2
	s_clause 0x1
	flat_load_b32 v29, v[10:11] offset:32
	flat_load_b32 v4, v[10:11] offset:20
	s_waitcnt vmcnt(2)
	v_dual_cndmask_b32 v164, 0, v19 :: v_dual_cndmask_b32 v167, 0, v18
	v_dual_cndmask_b32 v176, 0, v17 :: v_dual_mov_b32 v5, 0x31004000
	v_cndmask_b32_e32 v192, 0, v16, vcc_lo
	v_lshlrev_b32_e32 v30, 2, v27
	s_mov_b32 s3, exec_lo
	s_waitcnt vmcnt(1) lgkmcnt(1)
	v_cmp_gt_i32_e64 s0, v29, v0
	s_waitcnt vmcnt(0) lgkmcnt(0)
	v_cmp_gt_i32_e32 vcc_lo, v4, v165
	v_lshlrev_b32_e32 v4, 2, v35
	s_delay_alu instid0(VALU_DEP_3)
	s_and_b32 s0, vcc_lo, s0
.LBB1_5:                                ; =>This Inner Loop Header: Depth=1
	v_readfirstlane_b32 s4, v2
	v_readfirstlane_b32 s5, v3
	s_delay_alu instid0(VALU_DEP_3) | instskip(SKIP_1) | instid1(VALU_DEP_3)
	v_readfirstlane_b32 s6, v4
	v_readfirstlane_b32 s7, v5
	v_cmp_eq_u64_e64 s1, s[4:5], v[2:3]
	s_delay_alu instid0(VALU_DEP_2) | instskip(NEXT) | instid1(VALU_DEP_1)
	v_cmp_eq_u64_e64 s2, s[6:7], v[4:5]
	s_and_b32 s1, s1, s2
	s_delay_alu instid0(SALU_CYCLE_1)
	s_and_saveexec_b32 s1, s1
	buffer_load_b128 v[16:19], v30, s[4:7], 0 offen
                                        ; implicit-def: $vgpr30
	s_xor_b32 exec_lo, exec_lo, s1
	s_cbranch_execnz .LBB1_5
; %bb.6:
	s_mov_b32 exec_lo, s3
	v_lshlrev_b32_e32 v30, 2, v34
	s_waitcnt vmcnt(0)
	v_cndmask_b32_e64 v193, 0, v17, s0
	v_cndmask_b32_e64 v194, 0, v16, s0
	s_mov_b32 s2, exec_lo
	v_add_nc_u32_e32 v181, v30, v0
	v_add_nc_u32_e32 v182, v27, v30
	v_cndmask_b32_e64 v0, 0, v19, s0
	v_cndmask_b32_e64 v27, 0, v18, s0
	s_delay_alu instid0(VALU_DEP_4) | instskip(NEXT) | instid1(VALU_DEP_4)
	v_cmp_gt_i32_e64 s1, v29, v181
	v_lshlrev_b32_e32 v29, 2, v182
	s_delay_alu instid0(VALU_DEP_2)
	s_and_b32 vcc_lo, vcc_lo, s1
.LBB1_7:                                ; =>This Inner Loop Header: Depth=1
	v_readfirstlane_b32 s4, v2
	v_readfirstlane_b32 s5, v3
	;; [unrolled: 1-line block ×4, first 2 shown]
	s_delay_alu instid0(VALU_DEP_3) | instskip(NEXT) | instid1(VALU_DEP_2)
	v_cmp_eq_u64_e64 s0, s[4:5], v[2:3]
	v_cmp_eq_u64_e64 s1, s[6:7], v[4:5]
	s_delay_alu instid0(VALU_DEP_1) | instskip(NEXT) | instid1(SALU_CYCLE_1)
	s_and_b32 s0, s0, s1
	s_and_saveexec_b32 s0, s0
	buffer_load_b128 v[16:19], v29, s[4:7], 0 offen
                                        ; implicit-def: $vgpr29
	s_xor_b32 exec_lo, exec_lo, s0
	s_cbranch_execnz .LBB1_7
; %bb.8:
	s_mov_b32 exec_lo, s2
	flat_load_b32 v195, v[8:9] offset:168
	v_dual_mov_b32 v132, 0 :: v_dual_lshlrev_b32 v117, 2, v33
	s_waitcnt vmcnt(1)
	v_dual_cndmask_b32 v19, 0, v19 :: v_dual_cndmask_b32 v18, 0, v18
	v_dual_mov_b32 v129, 0 :: v_dual_lshlrev_b32 v160, 2, v69
	s_delay_alu instid0(VALU_DEP_3)
	v_lshl_or_b32 v162, v113, 9, v117
	v_dual_mov_b32 v130, 0 :: v_dual_lshlrev_b32 v161, 2, v68
	v_dual_mov_b32 v183, v180 :: v_dual_mov_b32 v82, 0
	v_dual_mov_b32 v131, 0 :: v_dual_mov_b32 v80, 0
	v_dual_mov_b32 v83, 0 :: v_dual_mov_b32 v34, 0
	v_dual_mov_b32 v81, 0 :: v_dual_mov_b32 v32, 0
	v_dual_mov_b32 v35, 0 :: v_dual_mov_b32 v66, 0
	v_dual_mov_b32 v33, 0 :: v_dual_mov_b32 v64, 0
	v_dual_mov_b32 v67, 0 :: v_dual_mov_b32 v50, 0
	v_dual_mov_b32 v65, 0 :: v_dual_mov_b32 v48, 0
	v_dual_mov_b32 v51, 0 :: v_dual_mov_b32 v134, 0
	v_dual_mov_b32 v49, 0 :: v_dual_mov_b32 v70, 0
	v_dual_mov_b32 v133, 0 :: v_dual_mov_b32 v146, 0
	v_dual_mov_b32 v71, 0 :: v_dual_mov_b32 v144, 0
	v_dual_mov_b32 v145, 0 :: v_dual_mov_b32 v30, 0
	v_dual_mov_b32 v135, 0 :: v_dual_mov_b32 v150, 0
	v_dual_mov_b32 v31, 0 :: v_dual_mov_b32 v148, 0
	v_dual_mov_b32 v147, 0 :: v_dual_mov_b32 v38, 0
	v_dual_mov_b32 v29, 0 :: v_dual_mov_b32 v36, 0
	v_dual_mov_b32 v151, 0 :: v_dual_mov_b32 v54, 0
	v_dual_mov_b32 v149, 0 :: v_dual_mov_b32 v52, 0
	v_dual_mov_b32 v39, 0 :: v_dual_mov_b32 v86, 0
	v_dual_mov_b32 v37, 0 :: v_dual_mov_b32 v84, 0
	v_dual_mov_b32 v55, 0 :: v_dual_mov_b32 v98, 0
	v_dual_mov_b32 v53, 0 :: v_dual_mov_b32 v96, 0
	v_dual_mov_b32 v87, 0 :: v_dual_mov_b32 v102, 0
	v_dual_mov_b32 v85, 0 :: v_dual_mov_b32 v100, 0
	v_dual_mov_b32 v99, 0 :: v_dual_mov_b32 v114, 0
	v_dual_mov_b32 v97, 0 :: v_dual_mov_b32 v112, 0
	v_dual_mov_b32 v103, 0 :: v_dual_mov_b32 v118, 0
	v_mov_b32_e32 v101, 0
	v_mov_b32_e32 v115, 0
	;; [unrolled: 1-line block ×5, first 2 shown]
	ds_store_2addr_stride64_b32 v162, v163, v26 offset1:2
	ds_store_2addr_stride64_b32 v162, v128, v28 offset0:4 offset1:6
	ds_store_2addr_stride64_b32 v162, v192, v176 offset0:8 offset1:10
	;; [unrolled: 1-line block ×3, first 2 shown]
	v_mov_b32_e32 v128, 0
	v_or_b32_e32 v167, 0x4000, v162
	v_or_b32_e32 v163, 0x2000, v162
	;; [unrolled: 1-line block ×3, first 2 shown]
	v_dual_cndmask_b32 v17, 0, v17 :: v_dual_cndmask_b32 v16, 0, v16
	s_mov_b32 s11, 0
	ds_store_2addr_stride64_b32 v162, v194, v193 offset0:64 offset1:66
	ds_store_2addr_stride64_b32 v162, v27, v0 offset0:68 offset1:70
	;; [unrolled: 1-line block ×4, first 2 shown]
	s_waitcnt vmcnt(0) lgkmcnt(8)
	v_subrev_nc_u32_e32 v176, 32, v195
.LBB1_9:                                ; =>This Loop Header: Depth=1
                                        ;     Child Loop BB1_10 Depth 2
                                        ;     Child Loop BB1_12 Depth 2
	;; [unrolled: 1-line block ×8, first 2 shown]
	s_clause 0x6
	flat_load_b32 v194, v[8:9] offset:156
	flat_load_b32 v198, v[8:9] offset:108
	;; [unrolled: 1-line block ×6, first 2 shown]
	flat_load_b96 v[26:28], v[8:9] offset:28
	s_mov_b32 s3, exec_lo
	s_waitcnt vmcnt(6) lgkmcnt(6)
	v_mul_lo_u32 v0, v194, 12
	s_waitcnt vmcnt(0) lgkmcnt(0)
	v_sub_nc_u32_e32 v26, v26, v28
	s_delay_alu instid0(VALU_DEP_2) | instskip(SKIP_4) | instid1(VALU_DEP_2)
	v_add_nc_u32_e32 v180, v0, v180
	v_add_nc_u32_e32 v193, v0, v183
	flat_load_b32 v183, v[10:11] offset:48
	v_mul_hi_u32 v0, v180, v198
	v_cmp_lt_i32_e64 s0, v193, v212
	v_add_nc_u32_e32 v0, v180, v0
	s_delay_alu instid0(VALU_DEP_1) | instskip(NEXT) | instid1(VALU_DEP_1)
	v_lshrrev_b32_e32 v195, v196, v0
	v_mul_lo_u32 v0, v195, v209
	s_delay_alu instid0(VALU_DEP_1) | instskip(SKIP_1) | instid1(VALU_DEP_2)
	v_sub_nc_u32_e32 v199, v180, v0
	v_sub_nc_u32_e32 v0, v195, v177
	;; [unrolled: 1-line block ×3, first 2 shown]
	s_delay_alu instid0(VALU_DEP_2) | instskip(NEXT) | instid1(VALU_DEP_1)
	v_mul_lo_u32 v17, v0, v211
	v_add_nc_u32_e32 v210, v17, v1
	flat_load_b64 v[0:1], v[8:9] offset:16
	v_cmp_le_i32_e64 s1, v27, v210
	v_cmp_gt_i32_e64 s2, v26, v210
	s_delay_alu instid0(VALU_DEP_1) | instskip(NEXT) | instid1(SALU_CYCLE_1)
	s_and_b32 s1, s1, s2
	s_and_b32 s0, s0, s1
	s_waitcnt vmcnt(0) lgkmcnt(0)
	v_mul_lo_u32 v17, v17, v0
	v_mul_lo_u32 v16, v16, v1
	s_delay_alu instid0(VALU_DEP_1) | instskip(SKIP_1) | instid1(VALU_DEP_2)
	v_add3_u32 v208, v17, v179, v16
	v_mul_lo_u32 v16, v183, 12
	v_lshlrev_b32_e32 v28, 2, v208
	s_delay_alu instid0(VALU_DEP_2)
	v_add_nc_u32_e32 v192, v16, v181
	v_add_nc_u32_e32 v197, v16, v182
	flat_load_b32 v16, v[8:9] offset:128
	s_waitcnt vmcnt(0) lgkmcnt(0)
	v_cmp_lt_i32_e32 vcc_lo, v166, v16
	s_and_b32 s0, vcc_lo, s0
.LBB1_10:                               ;   Parent Loop BB1_9 Depth=1
                                        ; =>  This Inner Loop Header: Depth=2
	v_readfirstlane_b32 s4, v22
	v_readfirstlane_b32 s5, v23
	;; [unrolled: 1-line block ×4, first 2 shown]
	s_delay_alu instid0(VALU_DEP_3) | instskip(NEXT) | instid1(VALU_DEP_2)
	v_cmp_eq_u64_e64 s1, s[4:5], v[22:23]
	v_cmp_eq_u64_e64 s2, s[6:7], v[24:25]
	s_delay_alu instid0(VALU_DEP_1) | instskip(NEXT) | instid1(SALU_CYCLE_1)
	s_and_b32 s1, s1, s2
	s_and_saveexec_b32 s1, s1
	buffer_load_b128 v[16:19], v28, s[4:7], 0 offen
                                        ; implicit-def: $vgpr28
	s_xor_b32 exec_lo, exec_lo, s1
	s_cbranch_execnz .LBB1_10
; %bb.11:                               ;   in Loop: Header=BB1_9 Depth=1
	s_mov_b32 exec_lo, s3
	v_lshlrev_b32_e32 v28, 2, v194
	s_delay_alu instid0(VALU_DEP_1) | instskip(NEXT) | instid1(VALU_DEP_1)
	v_add_nc_u32_e32 v178, v28, v180
	v_mul_hi_u32 v177, v178, v198
	s_delay_alu instid0(VALU_DEP_1) | instskip(NEXT) | instid1(VALU_DEP_1)
	v_add_nc_u32_e32 v177, v178, v177
	v_lshrrev_b32_e32 v177, v196, v177
	s_delay_alu instid0(VALU_DEP_1) | instskip(SKIP_1) | instid1(VALU_DEP_1)
	v_mul_lo_u32 v179, v177, v209
	v_sub_nc_u32_e32 v180, v177, v195
	v_mul_lo_u32 v180, v180, v211
	s_delay_alu instid0(VALU_DEP_3) | instskip(NEXT) | instid1(VALU_DEP_1)
	v_sub_nc_u32_e32 v179, v178, v179
	v_sub_nc_u32_e32 v181, v179, v199
	s_delay_alu instid0(VALU_DEP_3) | instskip(SKIP_2) | instid1(VALU_DEP_3)
	v_mul_lo_u32 v182, v180, v0
	s_waitcnt vmcnt(0)
	v_cndmask_b32_e64 v0, 0, v19, s0
	v_mul_lo_u32 v194, v181, v1
	v_add_nc_u32_e32 v181, v180, v210
	v_add_nc_u32_e32 v180, v28, v193
	v_cndmask_b32_e64 v1, 0, v18, s0
	s_delay_alu instid0(VALU_DEP_3)
	v_cmp_le_i32_e64 s1, v27, v181
	v_cmp_gt_i32_e64 s2, v26, v181
	v_add3_u32 v182, v182, v208, v194
	v_cmp_lt_i32_e64 s3, v180, v212
	v_cndmask_b32_e64 v27, 0, v17, s0
	v_cndmask_b32_e64 v26, 0, v16, s0
	s_and_b32 s0, s1, s2
	v_lshlrev_b32_e32 v28, 2, v182
	s_and_b32 s0, s3, s0
	s_mov_b32 s2, exec_lo
	s_and_b32 s0, vcc_lo, s0
.LBB1_12:                               ;   Parent Loop BB1_9 Depth=1
                                        ; =>  This Inner Loop Header: Depth=2
	v_readfirstlane_b32 s4, v22
	v_readfirstlane_b32 s5, v23
	;; [unrolled: 1-line block ×4, first 2 shown]
	s_delay_alu instid0(VALU_DEP_3) | instskip(NEXT) | instid1(VALU_DEP_2)
	v_cmp_eq_u64_e32 vcc_lo, s[4:5], v[22:23]
	v_cmp_eq_u64_e64 s1, s[6:7], v[24:25]
	s_delay_alu instid0(VALU_DEP_1) | instskip(NEXT) | instid1(SALU_CYCLE_1)
	s_and_b32 s1, vcc_lo, s1
	s_and_saveexec_b32 s1, s1
	buffer_load_b128 v[16:19], v28, s[4:7], 0 offen
                                        ; implicit-def: $vgpr28
	s_xor_b32 exec_lo, exec_lo, s1
	s_cbranch_execnz .LBB1_12
; %bb.13:                               ;   in Loop: Header=BB1_9 Depth=1
	s_mov_b32 exec_lo, s2
	s_clause 0x1
	flat_load_b32 v198, v[10:11] offset:32
	flat_load_b32 v194, v[10:11] offset:20
	s_waitcnt vmcnt(2)
	v_cndmask_b32_e64 v28, 0, v19, s0
	v_cndmask_b32_e64 v193, 0, v18, s0
	;; [unrolled: 1-line block ×3, first 2 shown]
	v_lshlrev_b32_e32 v196, 2, v197
	s_mov_b32 s3, exec_lo
	s_waitcnt vmcnt(1) lgkmcnt(1)
	v_cmp_gt_i32_e64 s1, v198, v192
	s_waitcnt vmcnt(0) lgkmcnt(0)
	v_cmp_gt_i32_e32 vcc_lo, v194, v165
	v_cndmask_b32_e64 v194, 0, v17, s0
	s_delay_alu instid0(VALU_DEP_3)
	s_and_b32 s0, vcc_lo, s1
.LBB1_14:                               ;   Parent Loop BB1_9 Depth=1
                                        ; =>  This Inner Loop Header: Depth=2
	v_readfirstlane_b32 s4, v2
	v_readfirstlane_b32 s5, v3
	;; [unrolled: 1-line block ×4, first 2 shown]
	s_delay_alu instid0(VALU_DEP_3) | instskip(NEXT) | instid1(VALU_DEP_2)
	v_cmp_eq_u64_e64 s1, s[4:5], v[2:3]
	v_cmp_eq_u64_e64 s2, s[6:7], v[4:5]
	s_delay_alu instid0(VALU_DEP_1) | instskip(NEXT) | instid1(SALU_CYCLE_1)
	s_and_b32 s1, s1, s2
	s_and_saveexec_b32 s1, s1
	buffer_load_b128 v[16:19], v196, s[4:7], 0 offen
                                        ; implicit-def: $vgpr196
	s_xor_b32 exec_lo, exec_lo, s1
	s_cbranch_execnz .LBB1_14
; %bb.15:                               ;   in Loop: Header=BB1_9 Depth=1
	s_mov_b32 exec_lo, s3
	v_lshlrev_b32_e32 v183, 2, v183
	s_waitcnt vmcnt(0)
	v_cndmask_b32_e64 v196, 0, v19, s0
	v_cndmask_b32_e64 v199, 0, v16, s0
	s_mov_b32 s2, exec_lo
	v_add_nc_u32_e32 v192, v183, v192
	v_add_nc_u32_e32 v183, v183, v197
	v_cndmask_b32_e64 v197, 0, v18, s0
	s_delay_alu instid0(VALU_DEP_3) | instskip(SKIP_1) | instid1(VALU_DEP_4)
	v_cmp_gt_i32_e64 s1, v198, v192
	v_cndmask_b32_e64 v198, 0, v17, s0
	v_lshlrev_b32_e32 v208, 2, v183
	s_delay_alu instid0(VALU_DEP_3)
	s_and_b32 vcc_lo, vcc_lo, s1
.LBB1_16:                               ;   Parent Loop BB1_9 Depth=1
                                        ; =>  This Inner Loop Header: Depth=2
	v_readfirstlane_b32 s4, v2
	v_readfirstlane_b32 s5, v3
	;; [unrolled: 1-line block ×4, first 2 shown]
	s_delay_alu instid0(VALU_DEP_3) | instskip(NEXT) | instid1(VALU_DEP_2)
	v_cmp_eq_u64_e64 s0, s[4:5], v[2:3]
	v_cmp_eq_u64_e64 s1, s[6:7], v[4:5]
	s_delay_alu instid0(VALU_DEP_1) | instskip(NEXT) | instid1(SALU_CYCLE_1)
	s_and_b32 s0, s0, s1
	s_and_saveexec_b32 s0, s0
	buffer_load_b128 v[16:19], v208, s[4:7], 0 offen
                                        ; implicit-def: $vgpr208
	s_xor_b32 exec_lo, exec_lo, s0
	s_cbranch_execnz .LBB1_16
; %bb.17:                               ;   in Loop: Header=BB1_9 Depth=1
	s_mov_b32 exec_lo, s2
	s_waitcnt vmcnt(0) lgkmcnt(0)
	s_waitcnt_vscnt null, 0x0
	s_barrier
	ds_load_b128 v[208:211], v160
	ds_load_b128 v[212:215], v161 offset:16384
	ds_load_b128 v[224:227], v161 offset:16640
	;; [unrolled: 1-line block ×3, first 2 shown]
	v_dual_cndmask_b32 v19, 0, v19 :: v_dual_cndmask_b32 v18, 0, v18
	v_dual_cndmask_b32 v17, 0, v17 :: v_dual_cndmask_b32 v16, 0, v16
	s_mov_b32 s3, exec_lo
	s_waitcnt lgkmcnt(2)
	;;#ASMSTART
	
             v_fmac_f32 v150, v208, v212 
             
	;;#ASMEND
	;;#ASMSTART
	
             v_fmac_f32 v151, v208, v213 
             
	;;#ASMEND
	;; [unrolled: 5-line block ×16, first 2 shown]
	s_waitcnt lgkmcnt(1)
	;;#ASMSTART
	
             v_fmac_f32 v31, v208, v224 
             
	;;#ASMEND
	;;#ASMSTART
	
             v_fmac_f32 v147, v208, v225 
             
	;;#ASMEND
	;; [unrolled: 5-line block ×16, first 2 shown]
	ds_load_b128 v[208:211], v160 offset:512
	s_waitcnt lgkmcnt(1)
	;;#ASMSTART
	
             v_fmac_f32 v129, v228, v212 
             
	;;#ASMEND
	;;#ASMSTART
	
             v_fmac_f32 v132, v228, v213 
             
	;;#ASMEND
	;; [unrolled: 5-line block ×16, first 2 shown]
	ds_load_b128 v[212:215], v161 offset:16896
	;;#ASMSTART
	
             v_fmac_f32 v38, v228, v224 
             
	;;#ASMEND
	;;#ASMSTART
	
             v_fmac_f32 v39, v228, v225 
             
	;;#ASMEND
	;;#ASMSTART
	
             v_fmac_f32 v36, v228, v226 
             
	;;#ASMEND
	;;#ASMSTART
	
             v_fmac_f32 v37, v228, v227 
             
	;;#ASMEND
	;;#ASMSTART
	
             v_fmac_f32 v86, v229, v224 
             
	;;#ASMEND
	;;#ASMSTART
	
             v_fmac_f32 v87, v229, v225 
             
	;;#ASMEND
	;;#ASMSTART
	
             v_fmac_f32 v84, v229, v226 
             
	;;#ASMEND
	;;#ASMSTART
	
             v_fmac_f32 v85, v229, v227 
             
	;;#ASMEND
	;;#ASMSTART
	
             v_fmac_f32 v102, v230, v224 
             
	;;#ASMEND
	;;#ASMSTART
	
             v_fmac_f32 v103, v230, v225 
             
	;;#ASMEND
	;;#ASMSTART
	
             v_fmac_f32 v100, v230, v226 
             
	;;#ASMEND
	;;#ASMSTART
	
             v_fmac_f32 v101, v230, v227 
             
	;;#ASMEND
	;;#ASMSTART
	
             v_fmac_f32 v119, v231, v224 
             
	;;#ASMEND
	;;#ASMSTART
	
             v_fmac_f32 v117, v231, v225 
             
	;;#ASMEND
	;;#ASMSTART
	
             v_fmac_f32 v118, v231, v226 
             
	;;#ASMEND
	;;#ASMSTART
	
             v_fmac_f32 v128, v231, v227 
             
	;;#ASMEND
	ds_load_b128 v[224:227], v161 offset:17152
	ds_load_b128 v[228:231], v160 offset:768
	s_waitcnt lgkmcnt(2)
	;;#ASMSTART
	
             v_fmac_f32 v150, v208, v212 
             
	;;#ASMEND
	;;#ASMSTART
	
             v_fmac_f32 v151, v208, v213 
             
	;;#ASMEND
	;; [unrolled: 5-line block ×16, first 2 shown]
	s_waitcnt lgkmcnt(1)
	;;#ASMSTART
	
             v_fmac_f32 v31, v208, v224 
             
	;;#ASMEND
	;;#ASMSTART
	
             v_fmac_f32 v147, v208, v225 
             
	;;#ASMEND
	;; [unrolled: 5-line block ×16, first 2 shown]
	ds_load_b128 v[208:211], v160 offset:1024
	s_waitcnt lgkmcnt(1)
	;;#ASMSTART
	
             v_fmac_f32 v129, v228, v212 
             
	;;#ASMEND
	;;#ASMSTART
	
             v_fmac_f32 v132, v228, v213 
             
	;;#ASMEND
	;; [unrolled: 5-line block ×16, first 2 shown]
	ds_load_b128 v[212:215], v161 offset:17408
	;;#ASMSTART
	
             v_fmac_f32 v38, v228, v224 
             
	;;#ASMEND
	;;#ASMSTART
	
             v_fmac_f32 v39, v228, v225 
             
	;;#ASMEND
	;; [unrolled: 5-line block ×16, first 2 shown]
	ds_load_b128 v[224:227], v161 offset:17664
	ds_load_b128 v[228:231], v160 offset:1280
	s_waitcnt lgkmcnt(2)
	;;#ASMSTART
	
             v_fmac_f32 v150, v208, v212 
             
	;;#ASMEND
	;;#ASMSTART
	
             v_fmac_f32 v151, v208, v213 
             
	;;#ASMEND
	;; [unrolled: 5-line block ×16, first 2 shown]
	s_waitcnt lgkmcnt(1)
	;;#ASMSTART
	
             v_fmac_f32 v31, v208, v224 
             
	;;#ASMEND
	;;#ASMSTART
	
             v_fmac_f32 v147, v208, v225 
             
	;;#ASMEND
	;; [unrolled: 5-line block ×16, first 2 shown]
	ds_load_b128 v[208:211], v160 offset:1536
	s_waitcnt lgkmcnt(1)
	;;#ASMSTART
	
             v_fmac_f32 v129, v228, v212 
             
	;;#ASMEND
	;;#ASMSTART
	
             v_fmac_f32 v132, v228, v213 
             
	;;#ASMEND
	;; [unrolled: 5-line block ×16, first 2 shown]
	ds_load_b128 v[212:215], v161 offset:17920
	;;#ASMSTART
	
             v_fmac_f32 v38, v228, v224 
             
	;;#ASMEND
	;;#ASMSTART
	
             v_fmac_f32 v39, v228, v225 
             
	;;#ASMEND
	;; [unrolled: 5-line block ×16, first 2 shown]
	ds_load_b128 v[224:227], v161 offset:18176
	ds_load_b128 v[228:231], v160 offset:1792
	s_waitcnt lgkmcnt(2)
	;;#ASMSTART
	
             v_fmac_f32 v150, v208, v212 
             
	;;#ASMEND
	;;#ASMSTART
	
             v_fmac_f32 v151, v208, v213 
             
	;;#ASMEND
	;;#ASMSTART
	
             v_fmac_f32 v148, v208, v214 
             
	;;#ASMEND
	;;#ASMSTART
	
             v_fmac_f32 v149, v208, v215 
             
	;;#ASMEND
	;;#ASMSTART
	
             v_fmac_f32 v146, v209, v212 
             
	;;#ASMEND
	;;#ASMSTART
	
             v_fmac_f32 v145, v209, v213 
             
	;;#ASMEND
	;;#ASMSTART
	
             v_fmac_f32 v144, v209, v214 
             
	;;#ASMEND
	;;#ASMSTART
	
             v_fmac_f32 v135, v209, v215 
             
	;;#ASMEND
	;;#ASMSTART
	
             v_fmac_f32 v51, v210, v212 
             
	;;#ASMEND
	;;#ASMSTART
	
             v_fmac_f32 v50, v210, v213 
             
	;;#ASMEND
	;;#ASMSTART
	
             v_fmac_f32 v49, v210, v214 
             
	;;#ASMEND
	;;#ASMSTART
	
             v_fmac_f32 v48, v210, v215 
             
	;;#ASMEND
	;;#ASMSTART
	
             v_fmac_f32 v35, v211, v212 
             
	;;#ASMEND
	;;#ASMSTART
	
             v_fmac_f32 v34, v211, v213 
             
	;;#ASMEND
	;;#ASMSTART
	
             v_fmac_f32 v33, v211, v214 
             
	;;#ASMEND
	;;#ASMSTART
	
             v_fmac_f32 v32, v211, v215 
             
	;;#ASMEND
	s_waitcnt lgkmcnt(1)
	;;#ASMSTART
	
             v_fmac_f32 v31, v208, v224 
             
	;;#ASMEND
	;;#ASMSTART
	
             v_fmac_f32 v147, v208, v225 
             
	;;#ASMEND
	;;#ASMSTART
	
             v_fmac_f32 v29, v208, v226 
             
	;;#ASMEND
	;;#ASMSTART
	
             v_fmac_f32 v30, v208, v227 
             
	;;#ASMEND
	;;#ASMSTART
	
             v_fmac_f32 v133, v209, v224 
             
	;;#ASMEND
	;;#ASMSTART
	
             v_fmac_f32 v134, v209, v225 
             
	;;#ASMEND
	;;#ASMSTART
	
             v_fmac_f32 v70, v209, v226 
             
	;;#ASMEND
	;;#ASMSTART
	
             v_fmac_f32 v71, v209, v227 
             
	;;#ASMEND
	;;#ASMSTART
	
             v_fmac_f32 v66, v210, v224 
             
	;;#ASMEND
	;;#ASMSTART
	
             v_fmac_f32 v67, v210, v225 
             
	;;#ASMEND
	;;#ASMSTART
	
             v_fmac_f32 v64, v210, v226 
             
	;;#ASMEND
	;;#ASMSTART
	
             v_fmac_f32 v65, v210, v227 
             
	;;#ASMEND
	;;#ASMSTART
	
             v_fmac_f32 v83, v211, v224 
             
	;;#ASMEND
	;;#ASMSTART
	
             v_fmac_f32 v82, v211, v225 
             
	;;#ASMEND
	;;#ASMSTART
	
             v_fmac_f32 v80, v211, v226 
             
	;;#ASMEND
	;;#ASMSTART
	
             v_fmac_f32 v81, v211, v227 
             
	;;#ASMEND
	ds_load_b128 v[208:211], v160 offset:2048
	s_waitcnt lgkmcnt(1)
	;;#ASMSTART
	
             v_fmac_f32 v129, v228, v212 
             
	;;#ASMEND
	;;#ASMSTART
	
             v_fmac_f32 v132, v228, v213 
             
	;;#ASMEND
	;; [unrolled: 5-line block ×16, first 2 shown]
	ds_load_b128 v[212:215], v161 offset:18432
	;;#ASMSTART
	
             v_fmac_f32 v38, v228, v224 
             
	;;#ASMEND
	;;#ASMSTART
	
             v_fmac_f32 v39, v228, v225 
             
	;;#ASMEND
	;; [unrolled: 5-line block ×16, first 2 shown]
	ds_load_b128 v[224:227], v161 offset:18688
	ds_load_b128 v[228:231], v160 offset:2304
	s_waitcnt lgkmcnt(2)
	;;#ASMSTART
	
             v_fmac_f32 v150, v208, v212 
             
	;;#ASMEND
	;;#ASMSTART
	
             v_fmac_f32 v151, v208, v213 
             
	;;#ASMEND
	;; [unrolled: 5-line block ×16, first 2 shown]
	s_waitcnt lgkmcnt(1)
	;;#ASMSTART
	
             v_fmac_f32 v31, v208, v224 
             
	;;#ASMEND
	;;#ASMSTART
	
             v_fmac_f32 v147, v208, v225 
             
	;;#ASMEND
	;; [unrolled: 5-line block ×16, first 2 shown]
	ds_load_b128 v[208:211], v160 offset:2560
	s_waitcnt lgkmcnt(1)
	;;#ASMSTART
	
             v_fmac_f32 v129, v228, v212 
             
	;;#ASMEND
	;;#ASMSTART
	
             v_fmac_f32 v132, v228, v213 
             
	;;#ASMEND
	;; [unrolled: 5-line block ×16, first 2 shown]
	ds_load_b128 v[212:215], v161 offset:18944
	;;#ASMSTART
	
             v_fmac_f32 v38, v228, v224 
             
	;;#ASMEND
	;;#ASMSTART
	
             v_fmac_f32 v39, v228, v225 
             
	;;#ASMEND
	;; [unrolled: 5-line block ×16, first 2 shown]
	ds_load_b128 v[224:227], v161 offset:19200
	ds_load_b128 v[228:231], v160 offset:2816
	s_waitcnt lgkmcnt(2)
	;;#ASMSTART
	
             v_fmac_f32 v150, v208, v212 
             
	;;#ASMEND
	;;#ASMSTART
	
             v_fmac_f32 v151, v208, v213 
             
	;;#ASMEND
	;;#ASMSTART
	
             v_fmac_f32 v148, v208, v214 
             
	;;#ASMEND
	;;#ASMSTART
	
             v_fmac_f32 v149, v208, v215 
             
	;;#ASMEND
	;;#ASMSTART
	
             v_fmac_f32 v146, v209, v212 
             
	;;#ASMEND
	;;#ASMSTART
	
             v_fmac_f32 v145, v209, v213 
             
	;;#ASMEND
	;;#ASMSTART
	
             v_fmac_f32 v144, v209, v214 
             
	;;#ASMEND
	;;#ASMSTART
	
             v_fmac_f32 v135, v209, v215 
             
	;;#ASMEND
	;;#ASMSTART
	
             v_fmac_f32 v51, v210, v212 
             
	;;#ASMEND
	;;#ASMSTART
	
             v_fmac_f32 v50, v210, v213 
             
	;;#ASMEND
	;;#ASMSTART
	
             v_fmac_f32 v49, v210, v214 
             
	;;#ASMEND
	;;#ASMSTART
	
             v_fmac_f32 v48, v210, v215 
             
	;;#ASMEND
	;;#ASMSTART
	
             v_fmac_f32 v35, v211, v212 
             
	;;#ASMEND
	;;#ASMSTART
	
             v_fmac_f32 v34, v211, v213 
             
	;;#ASMEND
	;;#ASMSTART
	
             v_fmac_f32 v33, v211, v214 
             
	;;#ASMEND
	;;#ASMSTART
	
             v_fmac_f32 v32, v211, v215 
             
	;;#ASMEND
	s_waitcnt lgkmcnt(1)
	;;#ASMSTART
	
             v_fmac_f32 v31, v208, v224 
             
	;;#ASMEND
	;;#ASMSTART
	
             v_fmac_f32 v147, v208, v225 
             
	;;#ASMEND
	;; [unrolled: 5-line block ×16, first 2 shown]
	ds_load_b128 v[208:211], v160 offset:3072
	s_waitcnt lgkmcnt(1)
	;;#ASMSTART
	
             v_fmac_f32 v129, v228, v212 
             
	;;#ASMEND
	;;#ASMSTART
	
             v_fmac_f32 v132, v228, v213 
             
	;;#ASMEND
	;; [unrolled: 5-line block ×16, first 2 shown]
	ds_load_b128 v[212:215], v161 offset:19456
	;;#ASMSTART
	
             v_fmac_f32 v38, v228, v224 
             
	;;#ASMEND
	;;#ASMSTART
	
             v_fmac_f32 v39, v228, v225 
             
	;;#ASMEND
	;; [unrolled: 5-line block ×16, first 2 shown]
	ds_load_b128 v[224:227], v161 offset:19712
	ds_load_b128 v[228:231], v160 offset:3328
	s_waitcnt lgkmcnt(2)
	;;#ASMSTART
	
             v_fmac_f32 v150, v208, v212 
             
	;;#ASMEND
	;;#ASMSTART
	
             v_fmac_f32 v151, v208, v213 
             
	;;#ASMEND
	;;#ASMSTART
	
             v_fmac_f32 v148, v208, v214 
             
	;;#ASMEND
	;;#ASMSTART
	
             v_fmac_f32 v149, v208, v215 
             
	;;#ASMEND
	;;#ASMSTART
	
             v_fmac_f32 v146, v209, v212 
             
	;;#ASMEND
	;;#ASMSTART
	
             v_fmac_f32 v145, v209, v213 
             
	;;#ASMEND
	;;#ASMSTART
	
             v_fmac_f32 v144, v209, v214 
             
	;;#ASMEND
	;;#ASMSTART
	
             v_fmac_f32 v135, v209, v215 
             
	;;#ASMEND
	;;#ASMSTART
	
             v_fmac_f32 v51, v210, v212 
             
	;;#ASMEND
	;;#ASMSTART
	
             v_fmac_f32 v50, v210, v213 
             
	;;#ASMEND
	;;#ASMSTART
	
             v_fmac_f32 v49, v210, v214 
             
	;;#ASMEND
	;;#ASMSTART
	
             v_fmac_f32 v48, v210, v215 
             
	;;#ASMEND
	;;#ASMSTART
	
             v_fmac_f32 v35, v211, v212 
             
	;;#ASMEND
	;;#ASMSTART
	
             v_fmac_f32 v34, v211, v213 
             
	;;#ASMEND
	;;#ASMSTART
	
             v_fmac_f32 v33, v211, v214 
             
	;;#ASMEND
	;;#ASMSTART
	
             v_fmac_f32 v32, v211, v215 
             
	;;#ASMEND
	s_waitcnt lgkmcnt(1)
	;;#ASMSTART
	
             v_fmac_f32 v31, v208, v224 
             
	;;#ASMEND
	;;#ASMSTART
	
             v_fmac_f32 v147, v208, v225 
             
	;;#ASMEND
	;; [unrolled: 5-line block ×16, first 2 shown]
	ds_load_b128 v[208:211], v160 offset:3584
	s_waitcnt lgkmcnt(1)
	;;#ASMSTART
	
             v_fmac_f32 v129, v228, v212 
             
	;;#ASMEND
	;;#ASMSTART
	
             v_fmac_f32 v132, v228, v213 
             
	;;#ASMEND
	;; [unrolled: 5-line block ×16, first 2 shown]
	ds_load_b128 v[212:215], v161 offset:19968
	;;#ASMSTART
	
             v_fmac_f32 v38, v228, v224 
             
	;;#ASMEND
	;;#ASMSTART
	
             v_fmac_f32 v39, v228, v225 
             
	;;#ASMEND
	;; [unrolled: 5-line block ×16, first 2 shown]
	ds_load_b128 v[224:227], v161 offset:20224
	ds_load_b128 v[228:231], v160 offset:3840
	s_waitcnt lgkmcnt(2)
	;;#ASMSTART
	
             v_fmac_f32 v150, v208, v212 
             
	;;#ASMEND
	;;#ASMSTART
	
             v_fmac_f32 v151, v208, v213 
             
	;;#ASMEND
	;; [unrolled: 5-line block ×16, first 2 shown]
	s_waitcnt lgkmcnt(1)
	;;#ASMSTART
	
             v_fmac_f32 v31, v208, v224 
             
	;;#ASMEND
	;;#ASMSTART
	
             v_fmac_f32 v147, v208, v225 
             
	;;#ASMEND
	;; [unrolled: 5-line block ×16, first 2 shown]
	ds_load_b128 v[208:211], v160 offset:4096
	s_waitcnt lgkmcnt(1)
	;;#ASMSTART
	
             v_fmac_f32 v129, v228, v212 
             
	;;#ASMEND
	;;#ASMSTART
	
             v_fmac_f32 v132, v228, v213 
             
	;;#ASMEND
	;; [unrolled: 5-line block ×16, first 2 shown]
	ds_load_b128 v[212:215], v161 offset:20480
	;;#ASMSTART
	
             v_fmac_f32 v38, v228, v224 
             
	;;#ASMEND
	;;#ASMSTART
	
             v_fmac_f32 v39, v228, v225 
             
	;;#ASMEND
	;; [unrolled: 5-line block ×16, first 2 shown]
	ds_load_b128 v[224:227], v161 offset:20736
	ds_load_b128 v[228:231], v160 offset:4352
	s_waitcnt lgkmcnt(2)
	;;#ASMSTART
	
             v_fmac_f32 v150, v208, v212 
             
	;;#ASMEND
	;;#ASMSTART
	
             v_fmac_f32 v151, v208, v213 
             
	;;#ASMEND
	;; [unrolled: 5-line block ×16, first 2 shown]
	s_waitcnt lgkmcnt(1)
	;;#ASMSTART
	
             v_fmac_f32 v31, v208, v224 
             
	;;#ASMEND
	;;#ASMSTART
	
             v_fmac_f32 v147, v208, v225 
             
	;;#ASMEND
	;; [unrolled: 5-line block ×16, first 2 shown]
	ds_load_b128 v[208:211], v160 offset:4608
	s_waitcnt lgkmcnt(1)
	;;#ASMSTART
	
             v_fmac_f32 v129, v228, v212 
             
	;;#ASMEND
	;;#ASMSTART
	
             v_fmac_f32 v132, v228, v213 
             
	;;#ASMEND
	;; [unrolled: 5-line block ×16, first 2 shown]
	ds_load_b128 v[212:215], v161 offset:20992
	;;#ASMSTART
	
             v_fmac_f32 v38, v228, v224 
             
	;;#ASMEND
	;;#ASMSTART
	
             v_fmac_f32 v39, v228, v225 
             
	;;#ASMEND
	;; [unrolled: 5-line block ×16, first 2 shown]
	ds_load_b128 v[224:227], v161 offset:21248
	ds_load_b128 v[228:231], v160 offset:4864
	s_waitcnt lgkmcnt(2)
	;;#ASMSTART
	
             v_fmac_f32 v150, v208, v212 
             
	;;#ASMEND
	;;#ASMSTART
	
             v_fmac_f32 v151, v208, v213 
             
	;;#ASMEND
	;;#ASMSTART
	
             v_fmac_f32 v148, v208, v214 
             
	;;#ASMEND
	;;#ASMSTART
	
             v_fmac_f32 v149, v208, v215 
             
	;;#ASMEND
	;;#ASMSTART
	
             v_fmac_f32 v146, v209, v212 
             
	;;#ASMEND
	;;#ASMSTART
	
             v_fmac_f32 v145, v209, v213 
             
	;;#ASMEND
	;;#ASMSTART
	
             v_fmac_f32 v144, v209, v214 
             
	;;#ASMEND
	;;#ASMSTART
	
             v_fmac_f32 v135, v209, v215 
             
	;;#ASMEND
	;;#ASMSTART
	
             v_fmac_f32 v51, v210, v212 
             
	;;#ASMEND
	;;#ASMSTART
	
             v_fmac_f32 v50, v210, v213 
             
	;;#ASMEND
	;;#ASMSTART
	
             v_fmac_f32 v49, v210, v214 
             
	;;#ASMEND
	;;#ASMSTART
	
             v_fmac_f32 v48, v210, v215 
             
	;;#ASMEND
	;;#ASMSTART
	
             v_fmac_f32 v35, v211, v212 
             
	;;#ASMEND
	;;#ASMSTART
	
             v_fmac_f32 v34, v211, v213 
             
	;;#ASMEND
	;;#ASMSTART
	
             v_fmac_f32 v33, v211, v214 
             
	;;#ASMEND
	;;#ASMSTART
	
             v_fmac_f32 v32, v211, v215 
             
	;;#ASMEND
	s_waitcnt lgkmcnt(1)
	;;#ASMSTART
	
             v_fmac_f32 v31, v208, v224 
             
	;;#ASMEND
	;;#ASMSTART
	
             v_fmac_f32 v147, v208, v225 
             
	;;#ASMEND
	;; [unrolled: 5-line block ×16, first 2 shown]
	ds_load_b128 v[208:211], v160 offset:5120
	s_waitcnt lgkmcnt(1)
	;;#ASMSTART
	
             v_fmac_f32 v129, v228, v212 
             
	;;#ASMEND
	;;#ASMSTART
	
             v_fmac_f32 v132, v228, v213 
             
	;;#ASMEND
	;; [unrolled: 5-line block ×16, first 2 shown]
	ds_load_b128 v[212:215], v161 offset:21504
	;;#ASMSTART
	
             v_fmac_f32 v38, v228, v224 
             
	;;#ASMEND
	;;#ASMSTART
	
             v_fmac_f32 v39, v228, v225 
             
	;;#ASMEND
	;;#ASMSTART
	
             v_fmac_f32 v36, v228, v226 
             
	;;#ASMEND
	;;#ASMSTART
	
             v_fmac_f32 v37, v228, v227 
             
	;;#ASMEND
	;;#ASMSTART
	
             v_fmac_f32 v86, v229, v224 
             
	;;#ASMEND
	;;#ASMSTART
	
             v_fmac_f32 v87, v229, v225 
             
	;;#ASMEND
	;;#ASMSTART
	
             v_fmac_f32 v84, v229, v226 
             
	;;#ASMEND
	;;#ASMSTART
	
             v_fmac_f32 v85, v229, v227 
             
	;;#ASMEND
	;;#ASMSTART
	
             v_fmac_f32 v102, v230, v224 
             
	;;#ASMEND
	;;#ASMSTART
	
             v_fmac_f32 v103, v230, v225 
             
	;;#ASMEND
	;;#ASMSTART
	
             v_fmac_f32 v100, v230, v226 
             
	;;#ASMEND
	;;#ASMSTART
	
             v_fmac_f32 v101, v230, v227 
             
	;;#ASMEND
	;;#ASMSTART
	
             v_fmac_f32 v119, v231, v224 
             
	;;#ASMEND
	;;#ASMSTART
	
             v_fmac_f32 v117, v231, v225 
             
	;;#ASMEND
	;;#ASMSTART
	
             v_fmac_f32 v118, v231, v226 
             
	;;#ASMEND
	;;#ASMSTART
	
             v_fmac_f32 v128, v231, v227 
             
	;;#ASMEND
	ds_load_b128 v[224:227], v161 offset:21760
	ds_load_b128 v[228:231], v160 offset:5376
	s_waitcnt lgkmcnt(2)
	;;#ASMSTART
	
             v_fmac_f32 v150, v208, v212 
             
	;;#ASMEND
	;;#ASMSTART
	
             v_fmac_f32 v151, v208, v213 
             
	;;#ASMEND
	;; [unrolled: 5-line block ×16, first 2 shown]
	s_waitcnt lgkmcnt(1)
	;;#ASMSTART
	
             v_fmac_f32 v31, v208, v224 
             
	;;#ASMEND
	;;#ASMSTART
	
             v_fmac_f32 v147, v208, v225 
             
	;;#ASMEND
	;;#ASMSTART
	
             v_fmac_f32 v29, v208, v226 
             
	;;#ASMEND
	;;#ASMSTART
	
             v_fmac_f32 v30, v208, v227 
             
	;;#ASMEND
	;;#ASMSTART
	
             v_fmac_f32 v133, v209, v224 
             
	;;#ASMEND
	;;#ASMSTART
	
             v_fmac_f32 v134, v209, v225 
             
	;;#ASMEND
	;;#ASMSTART
	
             v_fmac_f32 v70, v209, v226 
             
	;;#ASMEND
	;;#ASMSTART
	
             v_fmac_f32 v71, v209, v227 
             
	;;#ASMEND
	;;#ASMSTART
	
             v_fmac_f32 v66, v210, v224 
             
	;;#ASMEND
	;;#ASMSTART
	
             v_fmac_f32 v67, v210, v225 
             
	;;#ASMEND
	;;#ASMSTART
	
             v_fmac_f32 v64, v210, v226 
             
	;;#ASMEND
	;;#ASMSTART
	
             v_fmac_f32 v65, v210, v227 
             
	;;#ASMEND
	;;#ASMSTART
	
             v_fmac_f32 v83, v211, v224 
             
	;;#ASMEND
	;;#ASMSTART
	
             v_fmac_f32 v82, v211, v225 
             
	;;#ASMEND
	;;#ASMSTART
	
             v_fmac_f32 v80, v211, v226 
             
	;;#ASMEND
	;;#ASMSTART
	
             v_fmac_f32 v81, v211, v227 
             
	;;#ASMEND
	ds_load_b128 v[208:211], v160 offset:5632
	s_waitcnt lgkmcnt(1)
	;;#ASMSTART
	
             v_fmac_f32 v129, v228, v212 
             
	;;#ASMEND
	;;#ASMSTART
	
             v_fmac_f32 v132, v228, v213 
             
	;;#ASMEND
	;; [unrolled: 5-line block ×16, first 2 shown]
	ds_load_b128 v[212:215], v161 offset:22016
	;;#ASMSTART
	
             v_fmac_f32 v38, v228, v224 
             
	;;#ASMEND
	;;#ASMSTART
	
             v_fmac_f32 v39, v228, v225 
             
	;;#ASMEND
	;; [unrolled: 5-line block ×16, first 2 shown]
	ds_load_b128 v[224:227], v161 offset:22272
	ds_load_b128 v[228:231], v160 offset:5888
	s_waitcnt lgkmcnt(2)
	;;#ASMSTART
	
             v_fmac_f32 v150, v208, v212 
             
	;;#ASMEND
	;;#ASMSTART
	
             v_fmac_f32 v151, v208, v213 
             
	;;#ASMEND
	;;#ASMSTART
	
             v_fmac_f32 v148, v208, v214 
             
	;;#ASMEND
	;;#ASMSTART
	
             v_fmac_f32 v149, v208, v215 
             
	;;#ASMEND
	;;#ASMSTART
	
             v_fmac_f32 v146, v209, v212 
             
	;;#ASMEND
	;;#ASMSTART
	
             v_fmac_f32 v145, v209, v213 
             
	;;#ASMEND
	;;#ASMSTART
	
             v_fmac_f32 v144, v209, v214 
             
	;;#ASMEND
	;;#ASMSTART
	
             v_fmac_f32 v135, v209, v215 
             
	;;#ASMEND
	;;#ASMSTART
	
             v_fmac_f32 v51, v210, v212 
             
	;;#ASMEND
	;;#ASMSTART
	
             v_fmac_f32 v50, v210, v213 
             
	;;#ASMEND
	;;#ASMSTART
	
             v_fmac_f32 v49, v210, v214 
             
	;;#ASMEND
	;;#ASMSTART
	
             v_fmac_f32 v48, v210, v215 
             
	;;#ASMEND
	;;#ASMSTART
	
             v_fmac_f32 v35, v211, v212 
             
	;;#ASMEND
	;;#ASMSTART
	
             v_fmac_f32 v34, v211, v213 
             
	;;#ASMEND
	;;#ASMSTART
	
             v_fmac_f32 v33, v211, v214 
             
	;;#ASMEND
	;;#ASMSTART
	
             v_fmac_f32 v32, v211, v215 
             
	;;#ASMEND
	s_waitcnt lgkmcnt(1)
	;;#ASMSTART
	
             v_fmac_f32 v31, v208, v224 
             
	;;#ASMEND
	;;#ASMSTART
	
             v_fmac_f32 v147, v208, v225 
             
	;;#ASMEND
	;; [unrolled: 5-line block ×16, first 2 shown]
	ds_load_b128 v[208:211], v160 offset:6144
	s_waitcnt lgkmcnt(1)
	;;#ASMSTART
	
             v_fmac_f32 v129, v228, v212 
             
	;;#ASMEND
	;;#ASMSTART
	
             v_fmac_f32 v132, v228, v213 
             
	;;#ASMEND
	;; [unrolled: 5-line block ×16, first 2 shown]
	ds_load_b128 v[212:215], v161 offset:22528
	;;#ASMSTART
	
             v_fmac_f32 v38, v228, v224 
             
	;;#ASMEND
	;;#ASMSTART
	
             v_fmac_f32 v39, v228, v225 
             
	;;#ASMEND
	;;#ASMSTART
	
             v_fmac_f32 v36, v228, v226 
             
	;;#ASMEND
	;;#ASMSTART
	
             v_fmac_f32 v37, v228, v227 
             
	;;#ASMEND
	;;#ASMSTART
	
             v_fmac_f32 v86, v229, v224 
             
	;;#ASMEND
	;;#ASMSTART
	
             v_fmac_f32 v87, v229, v225 
             
	;;#ASMEND
	;;#ASMSTART
	
             v_fmac_f32 v84, v229, v226 
             
	;;#ASMEND
	;;#ASMSTART
	
             v_fmac_f32 v85, v229, v227 
             
	;;#ASMEND
	;;#ASMSTART
	
             v_fmac_f32 v102, v230, v224 
             
	;;#ASMEND
	;;#ASMSTART
	
             v_fmac_f32 v103, v230, v225 
             
	;;#ASMEND
	;;#ASMSTART
	
             v_fmac_f32 v100, v230, v226 
             
	;;#ASMEND
	;;#ASMSTART
	
             v_fmac_f32 v101, v230, v227 
             
	;;#ASMEND
	;;#ASMSTART
	
             v_fmac_f32 v119, v231, v224 
             
	;;#ASMEND
	;;#ASMSTART
	
             v_fmac_f32 v117, v231, v225 
             
	;;#ASMEND
	;;#ASMSTART
	
             v_fmac_f32 v118, v231, v226 
             
	;;#ASMEND
	;;#ASMSTART
	
             v_fmac_f32 v128, v231, v227 
             
	;;#ASMEND
	ds_load_b128 v[224:227], v161 offset:22784
	ds_load_b128 v[228:231], v160 offset:6400
	s_waitcnt lgkmcnt(2)
	;;#ASMSTART
	
             v_fmac_f32 v150, v208, v212 
             
	;;#ASMEND
	;;#ASMSTART
	
             v_fmac_f32 v151, v208, v213 
             
	;;#ASMEND
	;; [unrolled: 5-line block ×16, first 2 shown]
	s_waitcnt lgkmcnt(1)
	;;#ASMSTART
	
             v_fmac_f32 v31, v208, v224 
             
	;;#ASMEND
	;;#ASMSTART
	
             v_fmac_f32 v147, v208, v225 
             
	;;#ASMEND
	;;#ASMSTART
	
             v_fmac_f32 v29, v208, v226 
             
	;;#ASMEND
	;;#ASMSTART
	
             v_fmac_f32 v30, v208, v227 
             
	;;#ASMEND
	;;#ASMSTART
	
             v_fmac_f32 v133, v209, v224 
             
	;;#ASMEND
	;;#ASMSTART
	
             v_fmac_f32 v134, v209, v225 
             
	;;#ASMEND
	;;#ASMSTART
	
             v_fmac_f32 v70, v209, v226 
             
	;;#ASMEND
	;;#ASMSTART
	
             v_fmac_f32 v71, v209, v227 
             
	;;#ASMEND
	;;#ASMSTART
	
             v_fmac_f32 v66, v210, v224 
             
	;;#ASMEND
	;;#ASMSTART
	
             v_fmac_f32 v67, v210, v225 
             
	;;#ASMEND
	;;#ASMSTART
	
             v_fmac_f32 v64, v210, v226 
             
	;;#ASMEND
	;;#ASMSTART
	
             v_fmac_f32 v65, v210, v227 
             
	;;#ASMEND
	;;#ASMSTART
	
             v_fmac_f32 v83, v211, v224 
             
	;;#ASMEND
	;;#ASMSTART
	
             v_fmac_f32 v82, v211, v225 
             
	;;#ASMEND
	;;#ASMSTART
	
             v_fmac_f32 v80, v211, v226 
             
	;;#ASMEND
	;;#ASMSTART
	
             v_fmac_f32 v81, v211, v227 
             
	;;#ASMEND
	ds_load_b128 v[208:211], v160 offset:6656
	s_waitcnt lgkmcnt(1)
	;;#ASMSTART
	
             v_fmac_f32 v129, v228, v212 
             
	;;#ASMEND
	;;#ASMSTART
	
             v_fmac_f32 v132, v228, v213 
             
	;;#ASMEND
	;; [unrolled: 5-line block ×16, first 2 shown]
	ds_load_b128 v[212:215], v161 offset:23040
	;;#ASMSTART
	
             v_fmac_f32 v38, v228, v224 
             
	;;#ASMEND
	;;#ASMSTART
	
             v_fmac_f32 v39, v228, v225 
             
	;;#ASMEND
	;; [unrolled: 5-line block ×16, first 2 shown]
	ds_load_b128 v[224:227], v161 offset:23296
	ds_load_b128 v[228:231], v160 offset:6912
	s_waitcnt lgkmcnt(2)
	;;#ASMSTART
	
             v_fmac_f32 v150, v208, v212 
             
	;;#ASMEND
	;;#ASMSTART
	
             v_fmac_f32 v151, v208, v213 
             
	;;#ASMEND
	;; [unrolled: 5-line block ×16, first 2 shown]
	s_waitcnt lgkmcnt(1)
	;;#ASMSTART
	
             v_fmac_f32 v31, v208, v224 
             
	;;#ASMEND
	;;#ASMSTART
	
             v_fmac_f32 v147, v208, v225 
             
	;;#ASMEND
	;; [unrolled: 5-line block ×16, first 2 shown]
	ds_load_b128 v[208:211], v160 offset:7168
	s_waitcnt lgkmcnt(1)
	;;#ASMSTART
	
             v_fmac_f32 v129, v228, v212 
             
	;;#ASMEND
	;;#ASMSTART
	
             v_fmac_f32 v132, v228, v213 
             
	;;#ASMEND
	;; [unrolled: 5-line block ×16, first 2 shown]
	ds_load_b128 v[212:215], v161 offset:23552
	;;#ASMSTART
	
             v_fmac_f32 v38, v228, v224 
             
	;;#ASMEND
	;;#ASMSTART
	
             v_fmac_f32 v39, v228, v225 
             
	;;#ASMEND
	;; [unrolled: 5-line block ×16, first 2 shown]
	ds_load_b128 v[224:227], v161 offset:23808
	ds_load_b128 v[228:231], v160 offset:7424
	s_waitcnt lgkmcnt(2)
	;;#ASMSTART
	
             v_fmac_f32 v150, v208, v212 
             
	;;#ASMEND
	;;#ASMSTART
	
             v_fmac_f32 v151, v208, v213 
             
	;;#ASMEND
	;; [unrolled: 5-line block ×16, first 2 shown]
	s_waitcnt lgkmcnt(1)
	;;#ASMSTART
	
             v_fmac_f32 v31, v208, v224 
             
	;;#ASMEND
	;;#ASMSTART
	
             v_fmac_f32 v147, v208, v225 
             
	;;#ASMEND
	;; [unrolled: 5-line block ×16, first 2 shown]
	ds_load_b128 v[208:211], v160 offset:7680
	s_waitcnt lgkmcnt(1)
	;;#ASMSTART
	
             v_fmac_f32 v129, v228, v212 
             
	;;#ASMEND
	;;#ASMSTART
	
             v_fmac_f32 v132, v228, v213 
             
	;;#ASMEND
	;; [unrolled: 5-line block ×16, first 2 shown]
	ds_load_b128 v[212:215], v161 offset:24064
	;;#ASMSTART
	
             v_fmac_f32 v38, v228, v224 
             
	;;#ASMEND
	;;#ASMSTART
	
             v_fmac_f32 v39, v228, v225 
             
	;;#ASMEND
	;; [unrolled: 5-line block ×16, first 2 shown]
	ds_load_b128 v[224:227], v161 offset:24320
	ds_load_b128 v[228:231], v160 offset:7936
	s_waitcnt lgkmcnt(2)
	;;#ASMSTART
	
             v_fmac_f32 v150, v208, v212 
             
	;;#ASMEND
	;;#ASMSTART
	
             v_fmac_f32 v151, v208, v213 
             
	;;#ASMEND
	;; [unrolled: 5-line block ×16, first 2 shown]
	s_waitcnt lgkmcnt(1)
	;;#ASMSTART
	
             v_fmac_f32 v31, v208, v224 
             
	;;#ASMEND
	;;#ASMSTART
	
             v_fmac_f32 v147, v208, v225 
             
	;;#ASMEND
	;; [unrolled: 5-line block ×16, first 2 shown]
	s_waitcnt lgkmcnt(0)
	;;#ASMSTART
	
             v_fmac_f32 v129, v228, v212 
             
	;;#ASMEND
	;;#ASMSTART
	
             v_fmac_f32 v132, v228, v213 
             
	;;#ASMEND
	;;#ASMSTART
	
             v_fmac_f32 v131, v228, v214 
             
	;;#ASMEND
	;;#ASMSTART
	
             v_fmac_f32 v130, v228, v215 
             
	;;#ASMEND
	;;#ASMSTART
	
             v_fmac_f32 v55, v229, v212 
             
	;;#ASMEND
	;;#ASMSTART
	
             v_fmac_f32 v54, v229, v213 
             
	;;#ASMEND
	;;#ASMSTART
	
             v_fmac_f32 v53, v229, v214 
             
	;;#ASMEND
	;;#ASMSTART
	
             v_fmac_f32 v52, v229, v215 
             
	;;#ASMEND
	;;#ASMSTART
	
             v_fmac_f32 v99, v230, v212 
             
	;;#ASMEND
	;;#ASMSTART
	
             v_fmac_f32 v98, v230, v213 
             
	;;#ASMEND
	;;#ASMSTART
	
             v_fmac_f32 v97, v230, v214 
             
	;;#ASMEND
	;;#ASMSTART
	
             v_fmac_f32 v96, v230, v215 
             
	;;#ASMEND
	;;#ASMSTART
	
             v_fmac_f32 v115, v231, v212 
             
	;;#ASMEND
	;;#ASMSTART
	
             v_fmac_f32 v114, v231, v213 
             
	;;#ASMEND
	;;#ASMSTART
	
             v_fmac_f32 v112, v231, v214 
             
	;;#ASMEND
	;;#ASMSTART
	
             v_fmac_f32 v113, v231, v215 
             
	;;#ASMEND
	;;#ASMSTART
	
             v_fmac_f32 v38, v228, v224 
             
	;;#ASMEND
	;;#ASMSTART
	
             v_fmac_f32 v39, v228, v225 
             
	;;#ASMEND
	;;#ASMSTART
	
             v_fmac_f32 v36, v228, v226 
             
	;;#ASMEND
	;;#ASMSTART
	
             v_fmac_f32 v37, v228, v227 
             
	;;#ASMEND
	;;#ASMSTART
	
             v_fmac_f32 v86, v229, v224 
             
	;;#ASMEND
	;;#ASMSTART
	
             v_fmac_f32 v87, v229, v225 
             
	;;#ASMEND
	;;#ASMSTART
	
             v_fmac_f32 v84, v229, v226 
             
	;;#ASMEND
	;;#ASMSTART
	
             v_fmac_f32 v85, v229, v227 
             
	;;#ASMEND
	;;#ASMSTART
	
             v_fmac_f32 v102, v230, v224 
             
	;;#ASMEND
	;;#ASMSTART
	
             v_fmac_f32 v103, v230, v225 
             
	;;#ASMEND
	;;#ASMSTART
	
             v_fmac_f32 v100, v230, v226 
             
	;;#ASMEND
	;;#ASMSTART
	
             v_fmac_f32 v101, v230, v227 
             
	;;#ASMEND
	;;#ASMSTART
	
             v_fmac_f32 v119, v231, v224 
             
	;;#ASMEND
	;;#ASMSTART
	
             v_fmac_f32 v117, v231, v225 
             
	;;#ASMEND
	;;#ASMSTART
	
             v_fmac_f32 v118, v231, v226 
             
	;;#ASMEND
	;;#ASMSTART
	
             v_fmac_f32 v128, v231, v227 
             
	;;#ASMEND
	s_clause 0x4
	flat_load_b32 v208, v[8:9] offset:156
	flat_load_b32 v210, v[8:9] offset:108
	;; [unrolled: 1-line block ×5, first 2 shown]
	ds_store_2addr_stride64_b32 v163, v27, v1 offset0:2 offset1:4
	ds_store_2addr_stride64_b32 v163, v0, v195 offset0:6 offset1:8
	;; [unrolled: 1-line block ×7, first 2 shown]
	flat_load_b64 v[0:1], v[8:9] offset:16
	ds_store_b32 v163, v28 offset:3584
	ds_store_b32 v164, v19 offset:3584
	flat_load_b32 v196, v[10:11] offset:48
	s_clause 0x2
	flat_load_b96 v[26:28], v[8:9] offset:28
	flat_load_b32 v193, v[8:9] offset:140
	flat_load_b32 v16, v[8:9] offset:128
	s_waitcnt vmcnt(9) lgkmcnt(18)
	v_mul_lo_u32 v17, v208, 12
	s_waitcnt vmcnt(2) lgkmcnt(2)
	v_sub_nc_u32_e32 v28, v26, v28
	s_delay_alu instid0(VALU_DEP_2) | instskip(SKIP_3) | instid1(VALU_DEP_3)
	v_add_nc_u32_e32 v197, v17, v178
	v_add_nc_u32_e32 v26, v17, v180
	s_waitcnt vmcnt(0) lgkmcnt(0)
	v_cmp_lt_i32_e32 vcc_lo, v166, v16
	v_mul_hi_u32 v18, v197, v210
	s_delay_alu instid0(VALU_DEP_3) | instskip(NEXT) | instid1(VALU_DEP_2)
	v_cmp_lt_i32_e64 s2, v26, v193
	v_add_nc_u32_e32 v18, v197, v18
	s_delay_alu instid0(VALU_DEP_1) | instskip(NEXT) | instid1(VALU_DEP_1)
	v_lshrrev_b32_e32 v178, v209, v18
	v_mul_lo_u32 v18, v178, v211
	v_sub_nc_u32_e32 v19, v178, v177
	v_mul_lo_u32 v177, v196, 12
	s_delay_alu instid0(VALU_DEP_3) | instskip(NEXT) | instid1(VALU_DEP_3)
	v_sub_nc_u32_e32 v195, v197, v18
	v_mul_lo_u32 v18, v19, v212
	s_delay_alu instid0(VALU_DEP_2) | instskip(NEXT) | instid1(VALU_DEP_2)
	v_sub_nc_u32_e32 v19, v195, v179
	v_add_nc_u32_e32 v179, v18, v181
	v_mul_lo_u32 v18, v18, v0
	s_delay_alu instid0(VALU_DEP_3) | instskip(SKIP_1) | instid1(VALU_DEP_4)
	v_mul_lo_u32 v19, v19, v1
	v_add_nc_u32_e32 v181, v177, v192
	v_cmp_le_i32_e64 s0, v27, v179
	v_cmp_gt_i32_e64 s1, v28, v179
	s_delay_alu instid0(VALU_DEP_4) | instskip(NEXT) | instid1(VALU_DEP_2)
	v_add3_u32 v194, v18, v182, v19
	s_and_b32 s0, s0, s1
	v_add_nc_u32_e32 v182, v177, v183
	s_and_b32 s0, s2, s0
	s_delay_alu instid0(VALU_DEP_2)
	v_lshlrev_b32_e32 v177, 2, v194
	s_and_b32 s0, vcc_lo, s0
.LBB1_18:                               ;   Parent Loop BB1_9 Depth=1
                                        ; =>  This Inner Loop Header: Depth=2
	v_readfirstlane_b32 s4, v22
	v_readfirstlane_b32 s5, v23
	;; [unrolled: 1-line block ×4, first 2 shown]
	s_delay_alu instid0(VALU_DEP_3) | instskip(NEXT) | instid1(VALU_DEP_2)
	v_cmp_eq_u64_e64 s1, s[4:5], v[22:23]
	v_cmp_eq_u64_e64 s2, s[6:7], v[24:25]
	s_delay_alu instid0(VALU_DEP_1) | instskip(NEXT) | instid1(SALU_CYCLE_1)
	s_and_b32 s1, s1, s2
	s_and_saveexec_b32 s1, s1
	buffer_load_b128 v[16:19], v177, s[4:7], 0 offen
                                        ; implicit-def: $vgpr177
	s_xor_b32 exec_lo, exec_lo, s1
	s_cbranch_execnz .LBB1_18
; %bb.19:                               ;   in Loop: Header=BB1_9 Depth=1
	s_mov_b32 exec_lo, s3
	v_lshlrev_b32_e32 v183, 2, v208
	s_delay_alu instid0(VALU_DEP_1) | instskip(SKIP_3) | instid1(VALU_DEP_3)
	v_add_nc_u32_e32 v180, v183, v197
	v_add_nc_u32_e32 v183, v183, v26
	s_waitcnt vmcnt(0)
	v_cndmask_b32_e64 v26, 0, v18, s0
	v_mul_hi_u32 v177, v180, v210
	s_delay_alu instid0(VALU_DEP_3) | instskip(NEXT) | instid1(VALU_DEP_2)
	v_cmp_lt_i32_e64 s3, v183, v193
	v_add_nc_u32_e32 v177, v180, v177
	s_delay_alu instid0(VALU_DEP_1) | instskip(NEXT) | instid1(VALU_DEP_1)
	v_lshrrev_b32_e32 v177, v209, v177
	v_mul_lo_u32 v192, v177, v211
	v_sub_nc_u32_e32 v197, v177, v178
	s_delay_alu instid0(VALU_DEP_2) | instskip(NEXT) | instid1(VALU_DEP_2)
	v_sub_nc_u32_e32 v178, v180, v192
	v_mul_lo_u32 v192, v197, v212
	s_delay_alu instid0(VALU_DEP_2) | instskip(NEXT) | instid1(VALU_DEP_2)
	v_sub_nc_u32_e32 v195, v178, v195
	v_mul_lo_u32 v197, v192, v0
	s_delay_alu instid0(VALU_DEP_2) | instskip(SKIP_2) | instid1(VALU_DEP_2)
	v_mul_lo_u32 v195, v195, v1
	v_add_nc_u32_e32 v1, v192, v179
	v_cndmask_b32_e64 v0, 0, v19, s0
	v_cmp_le_i32_e64 s1, v27, v1
	v_cmp_gt_i32_e64 s2, v28, v1
	v_add3_u32 v179, v197, v194, v195
	v_cndmask_b32_e64 v27, 0, v17, s0
	v_cndmask_b32_e64 v28, 0, v16, s0
	s_delay_alu instid0(VALU_DEP_4) | instskip(NEXT) | instid1(VALU_DEP_3)
	s_and_b32 s0, s1, s2
	v_lshlrev_b32_e32 v192, 2, v179
	s_and_b32 s0, s3, s0
	s_mov_b32 s2, exec_lo
	s_and_b32 s0, vcc_lo, s0
.LBB1_20:                               ;   Parent Loop BB1_9 Depth=1
                                        ; =>  This Inner Loop Header: Depth=2
	v_readfirstlane_b32 s4, v22
	v_readfirstlane_b32 s5, v23
	;; [unrolled: 1-line block ×4, first 2 shown]
	s_delay_alu instid0(VALU_DEP_3) | instskip(NEXT) | instid1(VALU_DEP_2)
	v_cmp_eq_u64_e32 vcc_lo, s[4:5], v[22:23]
	v_cmp_eq_u64_e64 s1, s[6:7], v[24:25]
	s_delay_alu instid0(VALU_DEP_1) | instskip(NEXT) | instid1(SALU_CYCLE_1)
	s_and_b32 s1, vcc_lo, s1
	s_and_saveexec_b32 s1, s1
	buffer_load_b128 v[16:19], v192, s[4:7], 0 offen
                                        ; implicit-def: $vgpr192
	s_xor_b32 exec_lo, exec_lo, s1
	s_cbranch_execnz .LBB1_20
; %bb.21:                               ;   in Loop: Header=BB1_9 Depth=1
	s_mov_b32 exec_lo, s2
	s_clause 0x1
	flat_load_b32 v198, v[10:11] offset:32
	flat_load_b32 v194, v[10:11] offset:20
	s_waitcnt vmcnt(2)
	v_cndmask_b32_e64 v192, 0, v19, s0
	v_cndmask_b32_e64 v193, 0, v18, s0
	;; [unrolled: 1-line block ×3, first 2 shown]
	v_lshlrev_b32_e32 v197, 2, v182
	s_mov_b32 s3, exec_lo
	s_waitcnt vmcnt(1) lgkmcnt(1)
	v_cmp_gt_i32_e64 s1, v198, v181
	s_waitcnt vmcnt(0) lgkmcnt(0)
	v_cmp_gt_i32_e32 vcc_lo, v194, v165
	v_cndmask_b32_e64 v194, 0, v17, s0
	s_delay_alu instid0(VALU_DEP_3)
	s_and_b32 s0, vcc_lo, s1
.LBB1_22:                               ;   Parent Loop BB1_9 Depth=1
                                        ; =>  This Inner Loop Header: Depth=2
	v_readfirstlane_b32 s4, v2
	v_readfirstlane_b32 s5, v3
	;; [unrolled: 1-line block ×4, first 2 shown]
	s_delay_alu instid0(VALU_DEP_3) | instskip(NEXT) | instid1(VALU_DEP_2)
	v_cmp_eq_u64_e64 s1, s[4:5], v[2:3]
	v_cmp_eq_u64_e64 s2, s[6:7], v[4:5]
	s_delay_alu instid0(VALU_DEP_1) | instskip(NEXT) | instid1(SALU_CYCLE_1)
	s_and_b32 s1, s1, s2
	s_and_saveexec_b32 s1, s1
	buffer_load_b128 v[16:19], v197, s[4:7], 0 offen
                                        ; implicit-def: $vgpr197
	s_xor_b32 exec_lo, exec_lo, s1
	s_cbranch_execnz .LBB1_22
; %bb.23:                               ;   in Loop: Header=BB1_9 Depth=1
	s_mov_b32 exec_lo, s3
	v_lshlrev_b32_e32 v197, 2, v196
	s_waitcnt vmcnt(0)
	v_cndmask_b32_e64 v196, 0, v19, s0
	v_cndmask_b32_e64 v199, 0, v17, s0
	s_mov_b32 s2, exec_lo
	v_add_nc_u32_e32 v181, v197, v181
	v_add_nc_u32_e32 v182, v197, v182
	v_cndmask_b32_e64 v197, 0, v18, s0
	s_delay_alu instid0(VALU_DEP_3) | instskip(SKIP_1) | instid1(VALU_DEP_4)
	v_cmp_gt_i32_e64 s1, v198, v181
	v_cndmask_b32_e64 v198, 0, v16, s0
	v_lshlrev_b32_e32 v208, 2, v182
	s_delay_alu instid0(VALU_DEP_3)
	s_and_b32 vcc_lo, vcc_lo, s1
.LBB1_24:                               ;   Parent Loop BB1_9 Depth=1
                                        ; =>  This Inner Loop Header: Depth=2
	v_readfirstlane_b32 s4, v2
	v_readfirstlane_b32 s5, v3
	;; [unrolled: 1-line block ×4, first 2 shown]
	s_delay_alu instid0(VALU_DEP_3) | instskip(NEXT) | instid1(VALU_DEP_2)
	v_cmp_eq_u64_e64 s0, s[4:5], v[2:3]
	v_cmp_eq_u64_e64 s1, s[6:7], v[4:5]
	s_delay_alu instid0(VALU_DEP_1) | instskip(NEXT) | instid1(SALU_CYCLE_1)
	s_and_b32 s0, s0, s1
	s_and_saveexec_b32 s0, s0
	buffer_load_b128 v[16:19], v208, s[4:7], 0 offen
                                        ; implicit-def: $vgpr208
	s_xor_b32 exec_lo, exec_lo, s0
	s_cbranch_execnz .LBB1_24
; %bb.25:                               ;   in Loop: Header=BB1_9 Depth=1
	s_mov_b32 exec_lo, s2
	s_waitcnt vmcnt(0) lgkmcnt(0)
	s_barrier
	ds_load_b128 v[208:211], v160 offset:8192
	ds_load_b128 v[212:215], v161 offset:24576
	;; [unrolled: 1-line block ×4, first 2 shown]
	s_add_i32 s11, s11, 32
	v_dual_cndmask_b32 v240, 0, v19 :: v_dual_cndmask_b32 v241, 0, v18
	s_waitcnt lgkmcnt(2)
	;;#ASMSTART
	
             v_fmac_f32 v150, v208, v212 
             
	;;#ASMEND
	;;#ASMSTART
	
             v_fmac_f32 v151, v208, v213 
             
	;;#ASMEND
	;;#ASMSTART
	
             v_fmac_f32 v148, v208, v214 
             
	;;#ASMEND
	;;#ASMSTART
	
             v_fmac_f32 v149, v208, v215 
             
	;;#ASMEND
	;;#ASMSTART
	
             v_fmac_f32 v146, v209, v212 
             
	;;#ASMEND
	;;#ASMSTART
	
             v_fmac_f32 v145, v209, v213 
             
	;;#ASMEND
	;;#ASMSTART
	
             v_fmac_f32 v144, v209, v214 
             
	;;#ASMEND
	;;#ASMSTART
	
             v_fmac_f32 v135, v209, v215 
             
	;;#ASMEND
	;;#ASMSTART
	
             v_fmac_f32 v51, v210, v212 
             
	;;#ASMEND
	;;#ASMSTART
	
             v_fmac_f32 v50, v210, v213 
             
	;;#ASMEND
	;;#ASMSTART
	
             v_fmac_f32 v49, v210, v214 
             
	;;#ASMEND
	;;#ASMSTART
	
             v_fmac_f32 v48, v210, v215 
             
	;;#ASMEND
	;;#ASMSTART
	
             v_fmac_f32 v35, v211, v212 
             
	;;#ASMEND
	;;#ASMSTART
	
             v_fmac_f32 v34, v211, v213 
             
	;;#ASMEND
	;;#ASMSTART
	
             v_fmac_f32 v33, v211, v214 
             
	;;#ASMEND
	;;#ASMSTART
	
             v_fmac_f32 v32, v211, v215 
             
	;;#ASMEND
	s_waitcnt lgkmcnt(1)
	;;#ASMSTART
	
             v_fmac_f32 v31, v208, v224 
             
	;;#ASMEND
	;;#ASMSTART
	
             v_fmac_f32 v147, v208, v225 
             
	;;#ASMEND
	;; [unrolled: 5-line block ×16, first 2 shown]
	ds_load_b128 v[208:211], v160 offset:8704
	s_waitcnt lgkmcnt(1)
	;;#ASMSTART
	
             v_fmac_f32 v129, v228, v212 
             
	;;#ASMEND
	;;#ASMSTART
	
             v_fmac_f32 v132, v228, v213 
             
	;;#ASMEND
	;; [unrolled: 5-line block ×16, first 2 shown]
	ds_load_b128 v[212:215], v161 offset:25088
	;;#ASMSTART
	
             v_fmac_f32 v38, v228, v224 
             
	;;#ASMEND
	;;#ASMSTART
	
             v_fmac_f32 v39, v228, v225 
             
	;;#ASMEND
	;; [unrolled: 5-line block ×16, first 2 shown]
	ds_load_b128 v[224:227], v161 offset:25344
	ds_load_b128 v[228:231], v160 offset:8960
	s_waitcnt lgkmcnt(2)
	;;#ASMSTART
	
             v_fmac_f32 v150, v208, v212 
             
	;;#ASMEND
	;;#ASMSTART
	
             v_fmac_f32 v151, v208, v213 
             
	;;#ASMEND
	;;#ASMSTART
	
             v_fmac_f32 v148, v208, v214 
             
	;;#ASMEND
	;;#ASMSTART
	
             v_fmac_f32 v149, v208, v215 
             
	;;#ASMEND
	;;#ASMSTART
	
             v_fmac_f32 v146, v209, v212 
             
	;;#ASMEND
	;;#ASMSTART
	
             v_fmac_f32 v145, v209, v213 
             
	;;#ASMEND
	;;#ASMSTART
	
             v_fmac_f32 v144, v209, v214 
             
	;;#ASMEND
	;;#ASMSTART
	
             v_fmac_f32 v135, v209, v215 
             
	;;#ASMEND
	;;#ASMSTART
	
             v_fmac_f32 v51, v210, v212 
             
	;;#ASMEND
	;;#ASMSTART
	
             v_fmac_f32 v50, v210, v213 
             
	;;#ASMEND
	;;#ASMSTART
	
             v_fmac_f32 v49, v210, v214 
             
	;;#ASMEND
	;;#ASMSTART
	
             v_fmac_f32 v48, v210, v215 
             
	;;#ASMEND
	;;#ASMSTART
	
             v_fmac_f32 v35, v211, v212 
             
	;;#ASMEND
	;;#ASMSTART
	
             v_fmac_f32 v34, v211, v213 
             
	;;#ASMEND
	;;#ASMSTART
	
             v_fmac_f32 v33, v211, v214 
             
	;;#ASMEND
	;;#ASMSTART
	
             v_fmac_f32 v32, v211, v215 
             
	;;#ASMEND
	s_waitcnt lgkmcnt(1)
	;;#ASMSTART
	
             v_fmac_f32 v31, v208, v224 
             
	;;#ASMEND
	;;#ASMSTART
	
             v_fmac_f32 v147, v208, v225 
             
	;;#ASMEND
	;; [unrolled: 5-line block ×16, first 2 shown]
	ds_load_b128 v[208:211], v160 offset:9216
	s_waitcnt lgkmcnt(1)
	;;#ASMSTART
	
             v_fmac_f32 v129, v228, v212 
             
	;;#ASMEND
	;;#ASMSTART
	
             v_fmac_f32 v132, v228, v213 
             
	;;#ASMEND
	;; [unrolled: 5-line block ×16, first 2 shown]
	ds_load_b128 v[212:215], v161 offset:25600
	;;#ASMSTART
	
             v_fmac_f32 v38, v228, v224 
             
	;;#ASMEND
	;;#ASMSTART
	
             v_fmac_f32 v39, v228, v225 
             
	;;#ASMEND
	;; [unrolled: 5-line block ×16, first 2 shown]
	ds_load_b128 v[224:227], v161 offset:25856
	ds_load_b128 v[228:231], v160 offset:9472
	s_waitcnt lgkmcnt(2)
	;;#ASMSTART
	
             v_fmac_f32 v150, v208, v212 
             
	;;#ASMEND
	;;#ASMSTART
	
             v_fmac_f32 v151, v208, v213 
             
	;;#ASMEND
	;; [unrolled: 5-line block ×16, first 2 shown]
	s_waitcnt lgkmcnt(1)
	;;#ASMSTART
	
             v_fmac_f32 v31, v208, v224 
             
	;;#ASMEND
	;;#ASMSTART
	
             v_fmac_f32 v147, v208, v225 
             
	;;#ASMEND
	;; [unrolled: 5-line block ×16, first 2 shown]
	ds_load_b128 v[208:211], v160 offset:9728
	s_waitcnt lgkmcnt(1)
	;;#ASMSTART
	
             v_fmac_f32 v129, v228, v212 
             
	;;#ASMEND
	;;#ASMSTART
	
             v_fmac_f32 v132, v228, v213 
             
	;;#ASMEND
	;; [unrolled: 5-line block ×16, first 2 shown]
	ds_load_b128 v[212:215], v161 offset:26112
	;;#ASMSTART
	
             v_fmac_f32 v38, v228, v224 
             
	;;#ASMEND
	;;#ASMSTART
	
             v_fmac_f32 v39, v228, v225 
             
	;;#ASMEND
	;; [unrolled: 5-line block ×16, first 2 shown]
	ds_load_b128 v[224:227], v161 offset:26368
	ds_load_b128 v[228:231], v160 offset:9984
	s_waitcnt lgkmcnt(2)
	;;#ASMSTART
	
             v_fmac_f32 v150, v208, v212 
             
	;;#ASMEND
	;;#ASMSTART
	
             v_fmac_f32 v151, v208, v213 
             
	;;#ASMEND
	;; [unrolled: 5-line block ×16, first 2 shown]
	s_waitcnt lgkmcnt(1)
	;;#ASMSTART
	
             v_fmac_f32 v31, v208, v224 
             
	;;#ASMEND
	;;#ASMSTART
	
             v_fmac_f32 v147, v208, v225 
             
	;;#ASMEND
	;; [unrolled: 5-line block ×16, first 2 shown]
	ds_load_b128 v[208:211], v160 offset:10240
	s_waitcnt lgkmcnt(1)
	;;#ASMSTART
	
             v_fmac_f32 v129, v228, v212 
             
	;;#ASMEND
	;;#ASMSTART
	
             v_fmac_f32 v132, v228, v213 
             
	;;#ASMEND
	;; [unrolled: 5-line block ×16, first 2 shown]
	ds_load_b128 v[212:215], v161 offset:26624
	;;#ASMSTART
	
             v_fmac_f32 v38, v228, v224 
             
	;;#ASMEND
	;;#ASMSTART
	
             v_fmac_f32 v39, v228, v225 
             
	;;#ASMEND
	;; [unrolled: 5-line block ×16, first 2 shown]
	ds_load_b128 v[224:227], v161 offset:26880
	ds_load_b128 v[228:231], v160 offset:10496
	s_waitcnt lgkmcnt(2)
	;;#ASMSTART
	
             v_fmac_f32 v150, v208, v212 
             
	;;#ASMEND
	;;#ASMSTART
	
             v_fmac_f32 v151, v208, v213 
             
	;;#ASMEND
	;; [unrolled: 5-line block ×16, first 2 shown]
	s_waitcnt lgkmcnt(1)
	;;#ASMSTART
	
             v_fmac_f32 v31, v208, v224 
             
	;;#ASMEND
	;;#ASMSTART
	
             v_fmac_f32 v147, v208, v225 
             
	;;#ASMEND
	;; [unrolled: 5-line block ×16, first 2 shown]
	ds_load_b128 v[208:211], v160 offset:10752
	s_waitcnt lgkmcnt(1)
	;;#ASMSTART
	
             v_fmac_f32 v129, v228, v212 
             
	;;#ASMEND
	;;#ASMSTART
	
             v_fmac_f32 v132, v228, v213 
             
	;;#ASMEND
	;; [unrolled: 5-line block ×16, first 2 shown]
	ds_load_b128 v[212:215], v161 offset:27136
	;;#ASMSTART
	
             v_fmac_f32 v38, v228, v224 
             
	;;#ASMEND
	;;#ASMSTART
	
             v_fmac_f32 v39, v228, v225 
             
	;;#ASMEND
	;; [unrolled: 5-line block ×16, first 2 shown]
	ds_load_b128 v[224:227], v161 offset:27392
	ds_load_b128 v[228:231], v160 offset:11008
	s_waitcnt lgkmcnt(2)
	;;#ASMSTART
	
             v_fmac_f32 v150, v208, v212 
             
	;;#ASMEND
	;;#ASMSTART
	
             v_fmac_f32 v151, v208, v213 
             
	;;#ASMEND
	;; [unrolled: 5-line block ×16, first 2 shown]
	s_waitcnt lgkmcnt(1)
	;;#ASMSTART
	
             v_fmac_f32 v31, v208, v224 
             
	;;#ASMEND
	;;#ASMSTART
	
             v_fmac_f32 v147, v208, v225 
             
	;;#ASMEND
	;; [unrolled: 5-line block ×16, first 2 shown]
	ds_load_b128 v[208:211], v160 offset:11264
	s_waitcnt lgkmcnt(1)
	;;#ASMSTART
	
             v_fmac_f32 v129, v228, v212 
             
	;;#ASMEND
	;;#ASMSTART
	
             v_fmac_f32 v132, v228, v213 
             
	;;#ASMEND
	;; [unrolled: 5-line block ×16, first 2 shown]
	ds_load_b128 v[212:215], v161 offset:27648
	;;#ASMSTART
	
             v_fmac_f32 v38, v228, v224 
             
	;;#ASMEND
	;;#ASMSTART
	
             v_fmac_f32 v39, v228, v225 
             
	;;#ASMEND
	;; [unrolled: 5-line block ×16, first 2 shown]
	ds_load_b128 v[224:227], v161 offset:27904
	ds_load_b128 v[228:231], v160 offset:11520
	s_waitcnt lgkmcnt(2)
	;;#ASMSTART
	
             v_fmac_f32 v150, v208, v212 
             
	;;#ASMEND
	;;#ASMSTART
	
             v_fmac_f32 v151, v208, v213 
             
	;;#ASMEND
	;; [unrolled: 5-line block ×16, first 2 shown]
	s_waitcnt lgkmcnt(1)
	;;#ASMSTART
	
             v_fmac_f32 v31, v208, v224 
             
	;;#ASMEND
	;;#ASMSTART
	
             v_fmac_f32 v147, v208, v225 
             
	;;#ASMEND
	;; [unrolled: 5-line block ×16, first 2 shown]
	ds_load_b128 v[208:211], v160 offset:11776
	s_waitcnt lgkmcnt(1)
	;;#ASMSTART
	
             v_fmac_f32 v129, v228, v212 
             
	;;#ASMEND
	;;#ASMSTART
	
             v_fmac_f32 v132, v228, v213 
             
	;;#ASMEND
	;; [unrolled: 5-line block ×16, first 2 shown]
	ds_load_b128 v[212:215], v161 offset:28160
	;;#ASMSTART
	
             v_fmac_f32 v38, v228, v224 
             
	;;#ASMEND
	;;#ASMSTART
	
             v_fmac_f32 v39, v228, v225 
             
	;;#ASMEND
	;; [unrolled: 5-line block ×16, first 2 shown]
	ds_load_b128 v[224:227], v161 offset:28416
	ds_load_b128 v[228:231], v160 offset:12032
	s_waitcnt lgkmcnt(2)
	;;#ASMSTART
	
             v_fmac_f32 v150, v208, v212 
             
	;;#ASMEND
	;;#ASMSTART
	
             v_fmac_f32 v151, v208, v213 
             
	;;#ASMEND
	;; [unrolled: 5-line block ×16, first 2 shown]
	s_waitcnt lgkmcnt(1)
	;;#ASMSTART
	
             v_fmac_f32 v31, v208, v224 
             
	;;#ASMEND
	;;#ASMSTART
	
             v_fmac_f32 v147, v208, v225 
             
	;;#ASMEND
	;;#ASMSTART
	
             v_fmac_f32 v29, v208, v226 
             
	;;#ASMEND
	;;#ASMSTART
	
             v_fmac_f32 v30, v208, v227 
             
	;;#ASMEND
	;;#ASMSTART
	
             v_fmac_f32 v133, v209, v224 
             
	;;#ASMEND
	;;#ASMSTART
	
             v_fmac_f32 v134, v209, v225 
             
	;;#ASMEND
	;;#ASMSTART
	
             v_fmac_f32 v70, v209, v226 
             
	;;#ASMEND
	;;#ASMSTART
	
             v_fmac_f32 v71, v209, v227 
             
	;;#ASMEND
	;;#ASMSTART
	
             v_fmac_f32 v66, v210, v224 
             
	;;#ASMEND
	;;#ASMSTART
	
             v_fmac_f32 v67, v210, v225 
             
	;;#ASMEND
	;;#ASMSTART
	
             v_fmac_f32 v64, v210, v226 
             
	;;#ASMEND
	;;#ASMSTART
	
             v_fmac_f32 v65, v210, v227 
             
	;;#ASMEND
	;;#ASMSTART
	
             v_fmac_f32 v83, v211, v224 
             
	;;#ASMEND
	;;#ASMSTART
	
             v_fmac_f32 v82, v211, v225 
             
	;;#ASMEND
	;;#ASMSTART
	
             v_fmac_f32 v80, v211, v226 
             
	;;#ASMEND
	;;#ASMSTART
	
             v_fmac_f32 v81, v211, v227 
             
	;;#ASMEND
	ds_load_b128 v[208:211], v160 offset:12288
	s_waitcnt lgkmcnt(1)
	;;#ASMSTART
	
             v_fmac_f32 v129, v228, v212 
             
	;;#ASMEND
	;;#ASMSTART
	
             v_fmac_f32 v132, v228, v213 
             
	;;#ASMEND
	;; [unrolled: 5-line block ×16, first 2 shown]
	ds_load_b128 v[212:215], v161 offset:28672
	;;#ASMSTART
	
             v_fmac_f32 v38, v228, v224 
             
	;;#ASMEND
	;;#ASMSTART
	
             v_fmac_f32 v39, v228, v225 
             
	;;#ASMEND
	;; [unrolled: 5-line block ×16, first 2 shown]
	ds_load_b128 v[224:227], v161 offset:28928
	ds_load_b128 v[228:231], v160 offset:12544
	s_waitcnt lgkmcnt(2)
	;;#ASMSTART
	
             v_fmac_f32 v150, v208, v212 
             
	;;#ASMEND
	;;#ASMSTART
	
             v_fmac_f32 v151, v208, v213 
             
	;;#ASMEND
	;; [unrolled: 5-line block ×16, first 2 shown]
	s_waitcnt lgkmcnt(1)
	;;#ASMSTART
	
             v_fmac_f32 v31, v208, v224 
             
	;;#ASMEND
	;;#ASMSTART
	
             v_fmac_f32 v147, v208, v225 
             
	;;#ASMEND
	;; [unrolled: 5-line block ×16, first 2 shown]
	ds_load_b128 v[208:211], v160 offset:12800
	s_waitcnt lgkmcnt(1)
	;;#ASMSTART
	
             v_fmac_f32 v129, v228, v212 
             
	;;#ASMEND
	;;#ASMSTART
	
             v_fmac_f32 v132, v228, v213 
             
	;;#ASMEND
	;; [unrolled: 5-line block ×16, first 2 shown]
	ds_load_b128 v[212:215], v161 offset:29184
	;;#ASMSTART
	
             v_fmac_f32 v38, v228, v224 
             
	;;#ASMEND
	;;#ASMSTART
	
             v_fmac_f32 v39, v228, v225 
             
	;;#ASMEND
	;; [unrolled: 5-line block ×16, first 2 shown]
	ds_load_b128 v[224:227], v161 offset:29440
	ds_load_b128 v[228:231], v160 offset:13056
	s_waitcnt lgkmcnt(2)
	;;#ASMSTART
	
             v_fmac_f32 v150, v208, v212 
             
	;;#ASMEND
	;;#ASMSTART
	
             v_fmac_f32 v151, v208, v213 
             
	;;#ASMEND
	;; [unrolled: 5-line block ×16, first 2 shown]
	s_waitcnt lgkmcnt(1)
	;;#ASMSTART
	
             v_fmac_f32 v31, v208, v224 
             
	;;#ASMEND
	;;#ASMSTART
	
             v_fmac_f32 v147, v208, v225 
             
	;;#ASMEND
	;;#ASMSTART
	
             v_fmac_f32 v29, v208, v226 
             
	;;#ASMEND
	;;#ASMSTART
	
             v_fmac_f32 v30, v208, v227 
             
	;;#ASMEND
	;;#ASMSTART
	
             v_fmac_f32 v133, v209, v224 
             
	;;#ASMEND
	;;#ASMSTART
	
             v_fmac_f32 v134, v209, v225 
             
	;;#ASMEND
	;;#ASMSTART
	
             v_fmac_f32 v70, v209, v226 
             
	;;#ASMEND
	;;#ASMSTART
	
             v_fmac_f32 v71, v209, v227 
             
	;;#ASMEND
	;;#ASMSTART
	
             v_fmac_f32 v66, v210, v224 
             
	;;#ASMEND
	;;#ASMSTART
	
             v_fmac_f32 v67, v210, v225 
             
	;;#ASMEND
	;;#ASMSTART
	
             v_fmac_f32 v64, v210, v226 
             
	;;#ASMEND
	;;#ASMSTART
	
             v_fmac_f32 v65, v210, v227 
             
	;;#ASMEND
	;;#ASMSTART
	
             v_fmac_f32 v83, v211, v224 
             
	;;#ASMEND
	;;#ASMSTART
	
             v_fmac_f32 v82, v211, v225 
             
	;;#ASMEND
	;;#ASMSTART
	
             v_fmac_f32 v80, v211, v226 
             
	;;#ASMEND
	;;#ASMSTART
	
             v_fmac_f32 v81, v211, v227 
             
	;;#ASMEND
	ds_load_b128 v[208:211], v160 offset:13312
	s_waitcnt lgkmcnt(1)
	;;#ASMSTART
	
             v_fmac_f32 v129, v228, v212 
             
	;;#ASMEND
	;;#ASMSTART
	
             v_fmac_f32 v132, v228, v213 
             
	;;#ASMEND
	;; [unrolled: 5-line block ×16, first 2 shown]
	ds_load_b128 v[212:215], v161 offset:29696
	;;#ASMSTART
	
             v_fmac_f32 v38, v228, v224 
             
	;;#ASMEND
	;;#ASMSTART
	
             v_fmac_f32 v39, v228, v225 
             
	;;#ASMEND
	;; [unrolled: 5-line block ×16, first 2 shown]
	ds_load_b128 v[224:227], v161 offset:29952
	ds_load_b128 v[228:231], v160 offset:13568
	s_waitcnt lgkmcnt(2)
	;;#ASMSTART
	
             v_fmac_f32 v150, v208, v212 
             
	;;#ASMEND
	;;#ASMSTART
	
             v_fmac_f32 v151, v208, v213 
             
	;;#ASMEND
	;; [unrolled: 5-line block ×16, first 2 shown]
	s_waitcnt lgkmcnt(1)
	;;#ASMSTART
	
             v_fmac_f32 v31, v208, v224 
             
	;;#ASMEND
	;;#ASMSTART
	
             v_fmac_f32 v147, v208, v225 
             
	;;#ASMEND
	;; [unrolled: 5-line block ×16, first 2 shown]
	ds_load_b128 v[208:211], v160 offset:13824
	s_waitcnt lgkmcnt(1)
	;;#ASMSTART
	
             v_fmac_f32 v129, v228, v212 
             
	;;#ASMEND
	;;#ASMSTART
	
             v_fmac_f32 v132, v228, v213 
             
	;;#ASMEND
	;; [unrolled: 5-line block ×16, first 2 shown]
	ds_load_b128 v[212:215], v161 offset:30208
	;;#ASMSTART
	
             v_fmac_f32 v38, v228, v224 
             
	;;#ASMEND
	;;#ASMSTART
	
             v_fmac_f32 v39, v228, v225 
             
	;;#ASMEND
	;; [unrolled: 5-line block ×16, first 2 shown]
	ds_load_b128 v[224:227], v161 offset:30464
	ds_load_b128 v[228:231], v160 offset:14080
	s_waitcnt lgkmcnt(2)
	;;#ASMSTART
	
             v_fmac_f32 v150, v208, v212 
             
	;;#ASMEND
	;;#ASMSTART
	
             v_fmac_f32 v151, v208, v213 
             
	;;#ASMEND
	;; [unrolled: 5-line block ×16, first 2 shown]
	s_waitcnt lgkmcnt(1)
	;;#ASMSTART
	
             v_fmac_f32 v31, v208, v224 
             
	;;#ASMEND
	;;#ASMSTART
	
             v_fmac_f32 v147, v208, v225 
             
	;;#ASMEND
	;; [unrolled: 5-line block ×16, first 2 shown]
	ds_load_b128 v[208:211], v160 offset:14336
	s_waitcnt lgkmcnt(1)
	;;#ASMSTART
	
             v_fmac_f32 v129, v228, v212 
             
	;;#ASMEND
	;;#ASMSTART
	
             v_fmac_f32 v132, v228, v213 
             
	;;#ASMEND
	;; [unrolled: 5-line block ×16, first 2 shown]
	ds_load_b128 v[212:215], v161 offset:30720
	;;#ASMSTART
	
             v_fmac_f32 v38, v228, v224 
             
	;;#ASMEND
	;;#ASMSTART
	
             v_fmac_f32 v39, v228, v225 
             
	;;#ASMEND
	;; [unrolled: 5-line block ×16, first 2 shown]
	ds_load_b128 v[224:227], v161 offset:30976
	ds_load_b128 v[228:231], v160 offset:14592
	s_waitcnt lgkmcnt(2)
	;;#ASMSTART
	
             v_fmac_f32 v150, v208, v212 
             
	;;#ASMEND
	;;#ASMSTART
	
             v_fmac_f32 v151, v208, v213 
             
	;;#ASMEND
	;;#ASMSTART
	
             v_fmac_f32 v148, v208, v214 
             
	;;#ASMEND
	;;#ASMSTART
	
             v_fmac_f32 v149, v208, v215 
             
	;;#ASMEND
	;;#ASMSTART
	
             v_fmac_f32 v146, v209, v212 
             
	;;#ASMEND
	;;#ASMSTART
	
             v_fmac_f32 v145, v209, v213 
             
	;;#ASMEND
	;;#ASMSTART
	
             v_fmac_f32 v144, v209, v214 
             
	;;#ASMEND
	;;#ASMSTART
	
             v_fmac_f32 v135, v209, v215 
             
	;;#ASMEND
	;;#ASMSTART
	
             v_fmac_f32 v51, v210, v212 
             
	;;#ASMEND
	;;#ASMSTART
	
             v_fmac_f32 v50, v210, v213 
             
	;;#ASMEND
	;;#ASMSTART
	
             v_fmac_f32 v49, v210, v214 
             
	;;#ASMEND
	;;#ASMSTART
	
             v_fmac_f32 v48, v210, v215 
             
	;;#ASMEND
	;;#ASMSTART
	
             v_fmac_f32 v35, v211, v212 
             
	;;#ASMEND
	;;#ASMSTART
	
             v_fmac_f32 v34, v211, v213 
             
	;;#ASMEND
	;;#ASMSTART
	
             v_fmac_f32 v33, v211, v214 
             
	;;#ASMEND
	;;#ASMSTART
	
             v_fmac_f32 v32, v211, v215 
             
	;;#ASMEND
	s_waitcnt lgkmcnt(1)
	;;#ASMSTART
	
             v_fmac_f32 v31, v208, v224 
             
	;;#ASMEND
	;;#ASMSTART
	
             v_fmac_f32 v147, v208, v225 
             
	;;#ASMEND
	;; [unrolled: 5-line block ×16, first 2 shown]
	ds_load_b128 v[208:211], v160 offset:14848
	s_waitcnt lgkmcnt(1)
	;;#ASMSTART
	
             v_fmac_f32 v129, v228, v212 
             
	;;#ASMEND
	;;#ASMSTART
	
             v_fmac_f32 v132, v228, v213 
             
	;;#ASMEND
	;; [unrolled: 5-line block ×16, first 2 shown]
	ds_load_b128 v[212:215], v161 offset:31232
	;;#ASMSTART
	
             v_fmac_f32 v38, v228, v224 
             
	;;#ASMEND
	;;#ASMSTART
	
             v_fmac_f32 v39, v228, v225 
             
	;;#ASMEND
	;; [unrolled: 5-line block ×16, first 2 shown]
	ds_load_b128 v[224:227], v161 offset:31488
	ds_load_b128 v[228:231], v160 offset:15104
	s_waitcnt lgkmcnt(2)
	;;#ASMSTART
	
             v_fmac_f32 v150, v208, v212 
             
	;;#ASMEND
	;;#ASMSTART
	
             v_fmac_f32 v151, v208, v213 
             
	;;#ASMEND
	;; [unrolled: 5-line block ×16, first 2 shown]
	s_waitcnt lgkmcnt(1)
	;;#ASMSTART
	
             v_fmac_f32 v31, v208, v224 
             
	;;#ASMEND
	;;#ASMSTART
	
             v_fmac_f32 v147, v208, v225 
             
	;;#ASMEND
	;;#ASMSTART
	
             v_fmac_f32 v29, v208, v226 
             
	;;#ASMEND
	;;#ASMSTART
	
             v_fmac_f32 v30, v208, v227 
             
	;;#ASMEND
	;;#ASMSTART
	
             v_fmac_f32 v133, v209, v224 
             
	;;#ASMEND
	;;#ASMSTART
	
             v_fmac_f32 v134, v209, v225 
             
	;;#ASMEND
	;;#ASMSTART
	
             v_fmac_f32 v70, v209, v226 
             
	;;#ASMEND
	;;#ASMSTART
	
             v_fmac_f32 v71, v209, v227 
             
	;;#ASMEND
	;;#ASMSTART
	
             v_fmac_f32 v66, v210, v224 
             
	;;#ASMEND
	;;#ASMSTART
	
             v_fmac_f32 v67, v210, v225 
             
	;;#ASMEND
	;;#ASMSTART
	
             v_fmac_f32 v64, v210, v226 
             
	;;#ASMEND
	;;#ASMSTART
	
             v_fmac_f32 v65, v210, v227 
             
	;;#ASMEND
	;;#ASMSTART
	
             v_fmac_f32 v83, v211, v224 
             
	;;#ASMEND
	;;#ASMSTART
	
             v_fmac_f32 v82, v211, v225 
             
	;;#ASMEND
	;;#ASMSTART
	
             v_fmac_f32 v80, v211, v226 
             
	;;#ASMEND
	;;#ASMSTART
	
             v_fmac_f32 v81, v211, v227 
             
	;;#ASMEND
	ds_load_b128 v[208:211], v160 offset:15360
	s_waitcnt lgkmcnt(1)
	;;#ASMSTART
	
             v_fmac_f32 v129, v228, v212 
             
	;;#ASMEND
	;;#ASMSTART
	
             v_fmac_f32 v132, v228, v213 
             
	;;#ASMEND
	;; [unrolled: 5-line block ×16, first 2 shown]
	ds_load_b128 v[212:215], v161 offset:31744
	;;#ASMSTART
	
             v_fmac_f32 v38, v228, v224 
             
	;;#ASMEND
	;;#ASMSTART
	
             v_fmac_f32 v39, v228, v225 
             
	;;#ASMEND
	;; [unrolled: 5-line block ×16, first 2 shown]
	ds_load_b128 v[224:227], v161 offset:32000
	ds_load_b128 v[228:231], v160 offset:15616
	s_waitcnt lgkmcnt(2)
	;;#ASMSTART
	
             v_fmac_f32 v150, v208, v212 
             
	;;#ASMEND
	;;#ASMSTART
	
             v_fmac_f32 v151, v208, v213 
             
	;;#ASMEND
	;; [unrolled: 5-line block ×16, first 2 shown]
	s_waitcnt lgkmcnt(1)
	;;#ASMSTART
	
             v_fmac_f32 v31, v208, v224 
             
	;;#ASMEND
	;;#ASMSTART
	
             v_fmac_f32 v147, v208, v225 
             
	;;#ASMEND
	;;#ASMSTART
	
             v_fmac_f32 v29, v208, v226 
             
	;;#ASMEND
	;;#ASMSTART
	
             v_fmac_f32 v30, v208, v227 
             
	;;#ASMEND
	;;#ASMSTART
	
             v_fmac_f32 v133, v209, v224 
             
	;;#ASMEND
	;;#ASMSTART
	
             v_fmac_f32 v134, v209, v225 
             
	;;#ASMEND
	;;#ASMSTART
	
             v_fmac_f32 v70, v209, v226 
             
	;;#ASMEND
	;;#ASMSTART
	
             v_fmac_f32 v71, v209, v227 
             
	;;#ASMEND
	;;#ASMSTART
	
             v_fmac_f32 v66, v210, v224 
             
	;;#ASMEND
	;;#ASMSTART
	
             v_fmac_f32 v67, v210, v225 
             
	;;#ASMEND
	;;#ASMSTART
	
             v_fmac_f32 v64, v210, v226 
             
	;;#ASMEND
	;;#ASMSTART
	
             v_fmac_f32 v65, v210, v227 
             
	;;#ASMEND
	;;#ASMSTART
	
             v_fmac_f32 v83, v211, v224 
             
	;;#ASMEND
	;;#ASMSTART
	
             v_fmac_f32 v82, v211, v225 
             
	;;#ASMEND
	;;#ASMSTART
	
             v_fmac_f32 v80, v211, v226 
             
	;;#ASMEND
	;;#ASMSTART
	
             v_fmac_f32 v81, v211, v227 
             
	;;#ASMEND
	ds_load_b128 v[208:211], v160 offset:15872
	s_waitcnt lgkmcnt(1)
	;;#ASMSTART
	
             v_fmac_f32 v129, v228, v212 
             
	;;#ASMEND
	;;#ASMSTART
	
             v_fmac_f32 v132, v228, v213 
             
	;;#ASMEND
	;; [unrolled: 5-line block ×16, first 2 shown]
	ds_load_b128 v[212:215], v161 offset:32256
	;;#ASMSTART
	
             v_fmac_f32 v38, v228, v224 
             
	;;#ASMEND
	;;#ASMSTART
	
             v_fmac_f32 v39, v228, v225 
             
	;;#ASMEND
	;; [unrolled: 5-line block ×8, first 2 shown]
	v_dual_cndmask_b32 v228, 0, v17 :: v_dual_cndmask_b32 v229, 0, v16
	v_cmp_ge_i32_e32 vcc_lo, s11, v176
	;;#ASMSTART
	
             v_fmac_f32 v102, v230, v224 
             
	;;#ASMEND
	;;#ASMSTART
	
             v_fmac_f32 v103, v230, v225 
             
	;;#ASMEND
	;; [unrolled: 5-line block ×4, first 2 shown]
	s_or_b32 s10, vcc_lo, s10
	;;#ASMSTART
	
             v_fmac_f32 v119, v231, v224 
             
	;;#ASMEND
	;;#ASMSTART
	
             v_fmac_f32 v117, v231, v225 
             
	;;#ASMEND
	;; [unrolled: 5-line block ×4, first 2 shown]
	ds_load_b128 v[224:227], v161 offset:32512
	ds_load_b128 v[16:19], v160 offset:16128
	s_waitcnt lgkmcnt(2)
	;;#ASMSTART
	
             v_fmac_f32 v150, v208, v212 
             
	;;#ASMEND
	;;#ASMSTART
	
             v_fmac_f32 v151, v208, v213 
             
	;;#ASMEND
	;; [unrolled: 5-line block ×16, first 2 shown]
	s_waitcnt lgkmcnt(1)
	;;#ASMSTART
	
             v_fmac_f32 v31, v208, v224 
             
	;;#ASMEND
	;;#ASMSTART
	
             v_fmac_f32 v147, v208, v225 
             
	;;#ASMEND
	;;#ASMSTART
	
             v_fmac_f32 v29, v208, v226 
             
	;;#ASMEND
	;;#ASMSTART
	
             v_fmac_f32 v30, v208, v227 
             
	;;#ASMEND
	;;#ASMSTART
	
             v_fmac_f32 v133, v209, v224 
             
	;;#ASMEND
	;;#ASMSTART
	
             v_fmac_f32 v134, v209, v225 
             
	;;#ASMEND
	;;#ASMSTART
	
             v_fmac_f32 v70, v209, v226 
             
	;;#ASMEND
	;;#ASMSTART
	
             v_fmac_f32 v71, v209, v227 
             
	;;#ASMEND
	;;#ASMSTART
	
             v_fmac_f32 v66, v210, v224 
             
	;;#ASMEND
	;;#ASMSTART
	
             v_fmac_f32 v67, v210, v225 
             
	;;#ASMEND
	;;#ASMSTART
	
             v_fmac_f32 v64, v210, v226 
             
	;;#ASMEND
	;;#ASMSTART
	
             v_fmac_f32 v65, v210, v227 
             
	;;#ASMEND
	;;#ASMSTART
	
             v_fmac_f32 v83, v211, v224 
             
	;;#ASMEND
	;;#ASMSTART
	
             v_fmac_f32 v82, v211, v225 
             
	;;#ASMEND
	;;#ASMSTART
	
             v_fmac_f32 v80, v211, v226 
             
	;;#ASMEND
	;;#ASMSTART
	
             v_fmac_f32 v81, v211, v227 
             
	;;#ASMEND
	s_waitcnt lgkmcnt(0)
	;;#ASMSTART
	
             v_fmac_f32 v129, v16, v212 
             
	;;#ASMEND
	;;#ASMSTART
	
             v_fmac_f32 v132, v16, v213 
             
	;;#ASMEND
	;; [unrolled: 5-line block ×32, first 2 shown]
	ds_store_2addr_stride64_b32 v162, v28, v27 offset1:2
	ds_store_2addr_stride64_b32 v162, v26, v0 offset0:4 offset1:6
	ds_store_2addr_stride64_b32 v162, v195, v194 offset0:8 offset1:10
	;; [unrolled: 1-line block ×6, first 2 shown]
	ds_store_b32 v162, v198 offset:16384
	ds_store_b32 v167, v240 offset:3584
	s_and_not1_b32 exec_lo, exec_lo, s10
	s_cbranch_execnz .LBB1_9
; %bb.26:
	s_or_b32 exec_lo, exec_lo, s10
	s_clause 0x4
	flat_load_b32 v0, v[8:9] offset:156
	flat_load_b32 v18, v[8:9] offset:108
	;; [unrolled: 1-line block ×6, first 2 shown]
	flat_load_b64 v[16:17], v[8:9] offset:16
	s_waitcnt vmcnt(0) lgkmcnt(0)
	s_barrier
	s_clause 0x2
	flat_load_b96 v[26:28], v[8:9] offset:28
	flat_load_b32 v176, v[8:9] offset:140
	flat_load_b32 v195, v[8:9] offset:128
	s_mov_b32 s3, exec_lo
	v_mul_lo_u32 v196, v0, 12
	s_waitcnt vmcnt(2) lgkmcnt(2)
	v_sub_nc_u32_e32 v26, v26, v28
	s_delay_alu instid0(VALU_DEP_2) | instskip(SKIP_2) | instid1(VALU_DEP_2)
	v_add_nc_u32_e32 v192, v196, v180
	s_waitcnt vmcnt(0) lgkmcnt(0)
	v_cmp_lt_i32_e32 vcc_lo, v166, v195
	v_mul_hi_u32 v0, v192, v18
	s_delay_alu instid0(VALU_DEP_1) | instskip(NEXT) | instid1(VALU_DEP_1)
	v_add_nc_u32_e32 v0, v192, v0
	v_lshrrev_b32_e32 v180, v19, v0
	s_delay_alu instid0(VALU_DEP_1) | instskip(SKIP_1) | instid1(VALU_DEP_1)
	v_mul_lo_u32 v0, v180, v167
	v_sub_nc_u32_e32 v18, v180, v177
	v_mul_lo_u32 v18, v18, v193
	v_mul_lo_u32 v193, v194, 12
	s_delay_alu instid0(VALU_DEP_4) | instskip(NEXT) | instid1(VALU_DEP_1)
	v_sub_nc_u32_e32 v0, v192, v0
	v_sub_nc_u32_e32 v19, v0, v178
	s_delay_alu instid0(VALU_DEP_4)
	v_add_nc_u32_e32 v177, v18, v1
	v_mul_lo_u32 v1, v18, v16
	v_add_nc_u32_e32 v178, v196, v183
	v_add_nc_u32_e32 v167, v193, v181
	v_mul_lo_u32 v16, v19, v17
	v_cmp_le_i32_e64 s0, v27, v177
	v_cmp_gt_i32_e64 s1, v26, v177
	v_cmp_lt_i32_e64 s2, v178, v176
	v_add_nc_u32_e32 v28, v193, v182
	s_delay_alu instid0(VALU_DEP_3) | instskip(SKIP_1) | instid1(VALU_DEP_3)
	s_and_b32 s0, s0, s1
	v_add3_u32 v1, v1, v179, v16
	s_and_b32 s0, s2, s0
	s_delay_alu instid0(SALU_CYCLE_1) | instskip(NEXT) | instid1(VALU_DEP_1)
	s_and_b32 s0, vcc_lo, s0
	v_lshlrev_b32_e32 v166, 2, v1
.LBB1_27:                               ; =>This Inner Loop Header: Depth=1
	v_readfirstlane_b32 s4, v22
	v_readfirstlane_b32 s5, v23
	v_readfirstlane_b32 s6, v24
	v_readfirstlane_b32 s7, v25
	s_delay_alu instid0(VALU_DEP_3) | instskip(NEXT) | instid1(VALU_DEP_2)
	v_cmp_eq_u64_e64 s1, s[4:5], v[22:23]
	v_cmp_eq_u64_e64 s2, s[6:7], v[24:25]
	s_delay_alu instid0(VALU_DEP_1) | instskip(NEXT) | instid1(SALU_CYCLE_1)
	s_and_b32 s1, s1, s2
	s_and_saveexec_b32 s1, s1
	buffer_load_b128 v[16:19], v166, s[4:7], 0 offen
                                        ; implicit-def: $vgpr166
	s_xor_b32 exec_lo, exec_lo, s1
	s_cbranch_execnz .LBB1_27
; %bb.28:
	s_mov_b32 exec_lo, s3
	s_clause 0x5
	flat_load_b32 v166, v[8:9] offset:156
	flat_load_b32 v179, v[8:9] offset:108
	;; [unrolled: 1-line block ×5, first 2 shown]
	flat_load_b64 v[8:9], v[8:9] offset:16
	s_waitcnt vmcnt(5) lgkmcnt(5)
	v_lshlrev_b32_e32 v166, 2, v166
	s_delay_alu instid0(VALU_DEP_1) | instskip(SKIP_2) | instid1(VALU_DEP_2)
	v_add_nc_u32_e32 v192, v166, v192
	v_add_nc_u32_e32 v166, v166, v178
	s_waitcnt vmcnt(4) lgkmcnt(4)
	v_mul_hi_u32 v179, v192, v179
	s_delay_alu instid0(VALU_DEP_2) | instskip(NEXT) | instid1(VALU_DEP_2)
	v_cmp_lt_i32_e64 s3, v166, v176
	v_add_nc_u32_e32 v179, v192, v179
	s_waitcnt vmcnt(3) lgkmcnt(3)
	s_delay_alu instid0(VALU_DEP_1) | instskip(NEXT) | instid1(VALU_DEP_1)
	v_lshrrev_b32_e32 v181, v181, v179
	v_sub_nc_u32_e32 v193, v181, v180
	s_waitcnt vmcnt(2) lgkmcnt(2)
	v_mad_u64_u32 v[179:180], null, v181, v182, v[0:1]
	v_cndmask_b32_e64 v0, 0, v19, s0
	s_waitcnt vmcnt(1) lgkmcnt(1)
	v_mul_lo_u32 v180, v193, v183
	s_delay_alu instid0(VALU_DEP_3) | instskip(NEXT) | instid1(VALU_DEP_2)
	v_sub_nc_u32_e32 v179, v192, v179
	v_add_nc_u32_e32 v19, v180, v177
	s_waitcnt vmcnt(0) lgkmcnt(0)
	s_delay_alu instid0(VALU_DEP_2)
	v_mul_lo_u32 v9, v179, v9
	v_mad_u64_u32 v[177:178], null, v180, v8, v[1:2]
	v_cndmask_b32_e64 v1, 0, v16, s0
	v_cmp_le_i32_e64 s1, v27, v19
	v_cmp_gt_i32_e64 s2, v26, v19
	v_cndmask_b32_e64 v26, 0, v18, s0
	v_cndmask_b32_e64 v27, 0, v17, s0
	v_add_lshl_u32 v8, v177, v9, 2
	s_delay_alu instid0(VALU_DEP_4) | instskip(SKIP_2) | instid1(SALU_CYCLE_1)
	s_and_b32 s0, s1, s2
	s_mov_b32 s2, exec_lo
	s_and_b32 s0, s3, s0
	s_and_b32 s0, vcc_lo, s0
.LBB1_29:                               ; =>This Inner Loop Header: Depth=1
	v_readfirstlane_b32 s4, v22
	v_readfirstlane_b32 s5, v23
	;; [unrolled: 1-line block ×4, first 2 shown]
	s_delay_alu instid0(VALU_DEP_3) | instskip(NEXT) | instid1(VALU_DEP_2)
	v_cmp_eq_u64_e32 vcc_lo, s[4:5], v[22:23]
	v_cmp_eq_u64_e64 s1, s[6:7], v[24:25]
	s_delay_alu instid0(VALU_DEP_1) | instskip(NEXT) | instid1(SALU_CYCLE_1)
	s_and_b32 s1, vcc_lo, s1
	s_and_saveexec_b32 s1, s1
	buffer_load_b128 v[16:19], v8, s[4:7], 0 offen
                                        ; implicit-def: $vgpr22_vgpr23_vgpr24_vgpr25
                                        ; implicit-def: $vgpr8
	s_xor_b32 exec_lo, exec_lo, s1
	s_cbranch_execnz .LBB1_29
; %bb.30:
	s_mov_b32 exec_lo, s2
	s_clause 0x1
	flat_load_b32 v8, v[10:11] offset:32
	flat_load_b32 v9, v[10:11] offset:20
	s_waitcnt vmcnt(2)
	v_cndmask_b32_e64 v22, 0, v19, s0
	v_cndmask_b32_e64 v23, 0, v18, s0
	;; [unrolled: 1-line block ×4, first 2 shown]
	s_mov_b32 s3, exec_lo
	s_waitcnt vmcnt(1) lgkmcnt(1)
	v_cmp_gt_i32_e64 s1, v8, v167
	s_waitcnt vmcnt(0) lgkmcnt(0)
	v_cmp_gt_i32_e32 vcc_lo, v9, v165
	v_lshlrev_b32_e32 v9, 2, v28
	s_delay_alu instid0(VALU_DEP_3)
	s_and_b32 s0, vcc_lo, s1
.LBB1_31:                               ; =>This Inner Loop Header: Depth=1
	v_readfirstlane_b32 s4, v2
	v_readfirstlane_b32 s5, v3
	;; [unrolled: 1-line block ×4, first 2 shown]
	s_delay_alu instid0(VALU_DEP_3) | instskip(NEXT) | instid1(VALU_DEP_2)
	v_cmp_eq_u64_e64 s1, s[4:5], v[2:3]
	v_cmp_eq_u64_e64 s2, s[6:7], v[4:5]
	s_delay_alu instid0(VALU_DEP_1) | instskip(NEXT) | instid1(SALU_CYCLE_1)
	s_and_b32 s1, s1, s2
	s_and_saveexec_b32 s1, s1
	buffer_load_b128 v[16:19], v9, s[4:7], 0 offen
                                        ; implicit-def: $vgpr9
	s_xor_b32 exec_lo, exec_lo, s1
	s_cbranch_execnz .LBB1_31
; %bb.32:
	s_mov_b32 exec_lo, s3
	flat_load_b32 v9, v[10:11] offset:48
	s_waitcnt vmcnt(1)
	v_cndmask_b32_e64 v19, 0, v19, s0
	v_cndmask_b32_e64 v18, 0, v18, s0
	;; [unrolled: 1-line block ×4, first 2 shown]
	s_mov_b32 s2, exec_lo
	s_waitcnt vmcnt(0) lgkmcnt(0)
	v_lshlrev_b32_e32 v9, 2, v9
	s_delay_alu instid0(VALU_DEP_1) | instskip(SKIP_1) | instid1(VALU_DEP_2)
	v_add_nc_u32_e32 v10, v9, v167
	v_add_lshl_u32 v28, v9, v28, 2
	v_cmp_gt_i32_e64 s1, v8, v10
	s_delay_alu instid0(VALU_DEP_1)
	s_and_b32 vcc_lo, vcc_lo, s1
.LBB1_33:                               ; =>This Inner Loop Header: Depth=1
	v_readfirstlane_b32 s4, v2
	v_readfirstlane_b32 s5, v3
	;; [unrolled: 1-line block ×4, first 2 shown]
	s_delay_alu instid0(VALU_DEP_3) | instskip(NEXT) | instid1(VALU_DEP_2)
	v_cmp_eq_u64_e64 s0, s[4:5], v[2:3]
	v_cmp_eq_u64_e64 s1, s[6:7], v[4:5]
	s_delay_alu instid0(VALU_DEP_1) | instskip(NEXT) | instid1(SALU_CYCLE_1)
	s_and_b32 s0, s0, s1
	s_and_saveexec_b32 s0, s0
	buffer_load_b128 v[8:11], v28, s[4:7], 0 offen
                                        ; implicit-def: $vgpr2_vgpr3_vgpr4_vgpr5
                                        ; implicit-def: $vgpr28
	s_xor_b32 exec_lo, exec_lo, s0
	s_cbranch_execnz .LBB1_33
; %bb.34:
	s_mov_b32 exec_lo, s2
	ds_load_b128 v[2:5], v160
	ds_load_b128 v[176:179], v161 offset:16384
	ds_load_b128 v[180:183], v161 offset:16640
	;; [unrolled: 1-line block ×3, first 2 shown]
	s_waitcnt vmcnt(0)
	v_dual_cndmask_b32 v28, 0, v11 :: v_dual_cndmask_b32 v165, 0, v10
	v_dual_cndmask_b32 v166, 0, v9 :: v_dual_cndmask_b32 v167, 0, v8
	s_waitcnt lgkmcnt(2)
	;;#ASMSTART
	
             v_fmac_f32 v150, v2, v176 
             
	;;#ASMEND
	;;#ASMSTART
	
             v_fmac_f32 v151, v2, v177 
             
	;;#ASMEND
	;; [unrolled: 5-line block ×16, first 2 shown]
	s_waitcnt lgkmcnt(1)
	;;#ASMSTART
	
             v_fmac_f32 v31, v2, v180 
             
	;;#ASMEND
	;;#ASMSTART
	
             v_fmac_f32 v147, v2, v181 
             
	;;#ASMEND
	;; [unrolled: 5-line block ×16, first 2 shown]
	ds_load_b128 v[2:5], v160 offset:512
	s_waitcnt lgkmcnt(1)
	;;#ASMSTART
	
             v_fmac_f32 v129, v192, v176 
             
	;;#ASMEND
	;;#ASMSTART
	
             v_fmac_f32 v132, v192, v177 
             
	;;#ASMEND
	;; [unrolled: 5-line block ×16, first 2 shown]
	ds_load_b128 v[176:179], v161 offset:16896
	;;#ASMSTART
	
             v_fmac_f32 v38, v192, v180 
             
	;;#ASMEND
	;;#ASMSTART
	
             v_fmac_f32 v39, v192, v181 
             
	;;#ASMEND
	;; [unrolled: 5-line block ×16, first 2 shown]
	ds_load_b128 v[180:183], v161 offset:17152
	ds_load_b128 v[192:195], v160 offset:768
	s_waitcnt lgkmcnt(2)
	;;#ASMSTART
	
             v_fmac_f32 v150, v2, v176 
             
	;;#ASMEND
	;;#ASMSTART
	
             v_fmac_f32 v151, v2, v177 
             
	;;#ASMEND
	;; [unrolled: 5-line block ×16, first 2 shown]
	s_waitcnt lgkmcnt(1)
	;;#ASMSTART
	
             v_fmac_f32 v31, v2, v180 
             
	;;#ASMEND
	;;#ASMSTART
	
             v_fmac_f32 v147, v2, v181 
             
	;;#ASMEND
	;; [unrolled: 5-line block ×16, first 2 shown]
	ds_load_b128 v[2:5], v160 offset:1024
	s_waitcnt lgkmcnt(1)
	;;#ASMSTART
	
             v_fmac_f32 v129, v192, v176 
             
	;;#ASMEND
	;;#ASMSTART
	
             v_fmac_f32 v132, v192, v177 
             
	;;#ASMEND
	;; [unrolled: 5-line block ×16, first 2 shown]
	ds_load_b128 v[176:179], v161 offset:17408
	;;#ASMSTART
	
             v_fmac_f32 v38, v192, v180 
             
	;;#ASMEND
	;;#ASMSTART
	
             v_fmac_f32 v39, v192, v181 
             
	;;#ASMEND
	;; [unrolled: 5-line block ×16, first 2 shown]
	ds_load_b128 v[180:183], v161 offset:17664
	ds_load_b128 v[192:195], v160 offset:1280
	s_waitcnt lgkmcnt(2)
	;;#ASMSTART
	
             v_fmac_f32 v150, v2, v176 
             
	;;#ASMEND
	;;#ASMSTART
	
             v_fmac_f32 v151, v2, v177 
             
	;;#ASMEND
	;; [unrolled: 5-line block ×16, first 2 shown]
	s_waitcnt lgkmcnt(1)
	;;#ASMSTART
	
             v_fmac_f32 v31, v2, v180 
             
	;;#ASMEND
	;;#ASMSTART
	
             v_fmac_f32 v147, v2, v181 
             
	;;#ASMEND
	;; [unrolled: 5-line block ×16, first 2 shown]
	ds_load_b128 v[2:5], v160 offset:1536
	s_waitcnt lgkmcnt(1)
	;;#ASMSTART
	
             v_fmac_f32 v129, v192, v176 
             
	;;#ASMEND
	;;#ASMSTART
	
             v_fmac_f32 v132, v192, v177 
             
	;;#ASMEND
	;; [unrolled: 5-line block ×16, first 2 shown]
	ds_load_b128 v[176:179], v161 offset:17920
	;;#ASMSTART
	
             v_fmac_f32 v38, v192, v180 
             
	;;#ASMEND
	;;#ASMSTART
	
             v_fmac_f32 v39, v192, v181 
             
	;;#ASMEND
	;; [unrolled: 5-line block ×16, first 2 shown]
	ds_load_b128 v[180:183], v161 offset:18176
	ds_load_b128 v[192:195], v160 offset:1792
	s_waitcnt lgkmcnt(2)
	;;#ASMSTART
	
             v_fmac_f32 v150, v2, v176 
             
	;;#ASMEND
	;;#ASMSTART
	
             v_fmac_f32 v151, v2, v177 
             
	;;#ASMEND
	;; [unrolled: 5-line block ×16, first 2 shown]
	s_waitcnt lgkmcnt(1)
	;;#ASMSTART
	
             v_fmac_f32 v31, v2, v180 
             
	;;#ASMEND
	;;#ASMSTART
	
             v_fmac_f32 v147, v2, v181 
             
	;;#ASMEND
	;; [unrolled: 5-line block ×16, first 2 shown]
	ds_load_b128 v[2:5], v160 offset:2048
	s_waitcnt lgkmcnt(1)
	;;#ASMSTART
	
             v_fmac_f32 v129, v192, v176 
             
	;;#ASMEND
	;;#ASMSTART
	
             v_fmac_f32 v132, v192, v177 
             
	;;#ASMEND
	;; [unrolled: 5-line block ×16, first 2 shown]
	ds_load_b128 v[176:179], v161 offset:18432
	;;#ASMSTART
	
             v_fmac_f32 v38, v192, v180 
             
	;;#ASMEND
	;;#ASMSTART
	
             v_fmac_f32 v39, v192, v181 
             
	;;#ASMEND
	;; [unrolled: 5-line block ×16, first 2 shown]
	ds_load_b128 v[180:183], v161 offset:18688
	ds_load_b128 v[192:195], v160 offset:2304
	s_waitcnt lgkmcnt(2)
	;;#ASMSTART
	
             v_fmac_f32 v150, v2, v176 
             
	;;#ASMEND
	;;#ASMSTART
	
             v_fmac_f32 v151, v2, v177 
             
	;;#ASMEND
	;; [unrolled: 5-line block ×16, first 2 shown]
	s_waitcnt lgkmcnt(1)
	;;#ASMSTART
	
             v_fmac_f32 v31, v2, v180 
             
	;;#ASMEND
	;;#ASMSTART
	
             v_fmac_f32 v147, v2, v181 
             
	;;#ASMEND
	;; [unrolled: 5-line block ×16, first 2 shown]
	ds_load_b128 v[2:5], v160 offset:2560
	s_waitcnt lgkmcnt(1)
	;;#ASMSTART
	
             v_fmac_f32 v129, v192, v176 
             
	;;#ASMEND
	;;#ASMSTART
	
             v_fmac_f32 v132, v192, v177 
             
	;;#ASMEND
	;;#ASMSTART
	
             v_fmac_f32 v131, v192, v178 
             
	;;#ASMEND
	;;#ASMSTART
	
             v_fmac_f32 v130, v192, v179 
             
	;;#ASMEND
	;;#ASMSTART
	
             v_fmac_f32 v55, v193, v176 
             
	;;#ASMEND
	;;#ASMSTART
	
             v_fmac_f32 v54, v193, v177 
             
	;;#ASMEND
	;;#ASMSTART
	
             v_fmac_f32 v53, v193, v178 
             
	;;#ASMEND
	;;#ASMSTART
	
             v_fmac_f32 v52, v193, v179 
             
	;;#ASMEND
	;;#ASMSTART
	
             v_fmac_f32 v99, v194, v176 
             
	;;#ASMEND
	;;#ASMSTART
	
             v_fmac_f32 v98, v194, v177 
             
	;;#ASMEND
	;;#ASMSTART
	
             v_fmac_f32 v97, v194, v178 
             
	;;#ASMEND
	;;#ASMSTART
	
             v_fmac_f32 v96, v194, v179 
             
	;;#ASMEND
	;;#ASMSTART
	
             v_fmac_f32 v115, v195, v176 
             
	;;#ASMEND
	;;#ASMSTART
	
             v_fmac_f32 v114, v195, v177 
             
	;;#ASMEND
	;;#ASMSTART
	
             v_fmac_f32 v112, v195, v178 
             
	;;#ASMEND
	;;#ASMSTART
	
             v_fmac_f32 v113, v195, v179 
             
	;;#ASMEND
	ds_load_b128 v[176:179], v161 offset:18944
	;;#ASMSTART
	
             v_fmac_f32 v38, v192, v180 
             
	;;#ASMEND
	;;#ASMSTART
	
             v_fmac_f32 v39, v192, v181 
             
	;;#ASMEND
	;; [unrolled: 5-line block ×16, first 2 shown]
	ds_load_b128 v[180:183], v161 offset:19200
	ds_load_b128 v[192:195], v160 offset:2816
	s_waitcnt lgkmcnt(2)
	;;#ASMSTART
	
             v_fmac_f32 v150, v2, v176 
             
	;;#ASMEND
	;;#ASMSTART
	
             v_fmac_f32 v151, v2, v177 
             
	;;#ASMEND
	;; [unrolled: 5-line block ×16, first 2 shown]
	s_waitcnt lgkmcnt(1)
	;;#ASMSTART
	
             v_fmac_f32 v31, v2, v180 
             
	;;#ASMEND
	;;#ASMSTART
	
             v_fmac_f32 v147, v2, v181 
             
	;;#ASMEND
	;; [unrolled: 5-line block ×16, first 2 shown]
	ds_load_b128 v[2:5], v160 offset:3072
	s_waitcnt lgkmcnt(1)
	;;#ASMSTART
	
             v_fmac_f32 v129, v192, v176 
             
	;;#ASMEND
	;;#ASMSTART
	
             v_fmac_f32 v132, v192, v177 
             
	;;#ASMEND
	;; [unrolled: 5-line block ×16, first 2 shown]
	ds_load_b128 v[176:179], v161 offset:19456
	;;#ASMSTART
	
             v_fmac_f32 v38, v192, v180 
             
	;;#ASMEND
	;;#ASMSTART
	
             v_fmac_f32 v39, v192, v181 
             
	;;#ASMEND
	;; [unrolled: 5-line block ×16, first 2 shown]
	ds_load_b128 v[180:183], v161 offset:19712
	ds_load_b128 v[192:195], v160 offset:3328
	s_waitcnt lgkmcnt(2)
	;;#ASMSTART
	
             v_fmac_f32 v150, v2, v176 
             
	;;#ASMEND
	;;#ASMSTART
	
             v_fmac_f32 v151, v2, v177 
             
	;;#ASMEND
	;;#ASMSTART
	
             v_fmac_f32 v148, v2, v178 
             
	;;#ASMEND
	;;#ASMSTART
	
             v_fmac_f32 v149, v2, v179 
             
	;;#ASMEND
	;;#ASMSTART
	
             v_fmac_f32 v146, v3, v176 
             
	;;#ASMEND
	;;#ASMSTART
	
             v_fmac_f32 v145, v3, v177 
             
	;;#ASMEND
	;;#ASMSTART
	
             v_fmac_f32 v144, v3, v178 
             
	;;#ASMEND
	;;#ASMSTART
	
             v_fmac_f32 v135, v3, v179 
             
	;;#ASMEND
	;;#ASMSTART
	
             v_fmac_f32 v51, v4, v176 
             
	;;#ASMEND
	;;#ASMSTART
	
             v_fmac_f32 v50, v4, v177 
             
	;;#ASMEND
	;;#ASMSTART
	
             v_fmac_f32 v49, v4, v178 
             
	;;#ASMEND
	;;#ASMSTART
	
             v_fmac_f32 v48, v4, v179 
             
	;;#ASMEND
	;;#ASMSTART
	
             v_fmac_f32 v35, v5, v176 
             
	;;#ASMEND
	;;#ASMSTART
	
             v_fmac_f32 v34, v5, v177 
             
	;;#ASMEND
	;;#ASMSTART
	
             v_fmac_f32 v33, v5, v178 
             
	;;#ASMEND
	;;#ASMSTART
	
             v_fmac_f32 v32, v5, v179 
             
	;;#ASMEND
	s_waitcnt lgkmcnt(1)
	;;#ASMSTART
	
             v_fmac_f32 v31, v2, v180 
             
	;;#ASMEND
	;;#ASMSTART
	
             v_fmac_f32 v147, v2, v181 
             
	;;#ASMEND
	;; [unrolled: 5-line block ×16, first 2 shown]
	ds_load_b128 v[2:5], v160 offset:3584
	s_waitcnt lgkmcnt(1)
	;;#ASMSTART
	
             v_fmac_f32 v129, v192, v176 
             
	;;#ASMEND
	;;#ASMSTART
	
             v_fmac_f32 v132, v192, v177 
             
	;;#ASMEND
	;; [unrolled: 5-line block ×16, first 2 shown]
	ds_load_b128 v[176:179], v161 offset:19968
	;;#ASMSTART
	
             v_fmac_f32 v38, v192, v180 
             
	;;#ASMEND
	;;#ASMSTART
	
             v_fmac_f32 v39, v192, v181 
             
	;;#ASMEND
	;; [unrolled: 5-line block ×16, first 2 shown]
	ds_load_b128 v[180:183], v161 offset:20224
	ds_load_b128 v[192:195], v160 offset:3840
	s_waitcnt lgkmcnt(2)
	;;#ASMSTART
	
             v_fmac_f32 v150, v2, v176 
             
	;;#ASMEND
	;;#ASMSTART
	
             v_fmac_f32 v151, v2, v177 
             
	;;#ASMEND
	;;#ASMSTART
	
             v_fmac_f32 v148, v2, v178 
             
	;;#ASMEND
	;;#ASMSTART
	
             v_fmac_f32 v149, v2, v179 
             
	;;#ASMEND
	;;#ASMSTART
	
             v_fmac_f32 v146, v3, v176 
             
	;;#ASMEND
	;;#ASMSTART
	
             v_fmac_f32 v145, v3, v177 
             
	;;#ASMEND
	;;#ASMSTART
	
             v_fmac_f32 v144, v3, v178 
             
	;;#ASMEND
	;;#ASMSTART
	
             v_fmac_f32 v135, v3, v179 
             
	;;#ASMEND
	;;#ASMSTART
	
             v_fmac_f32 v51, v4, v176 
             
	;;#ASMEND
	;;#ASMSTART
	
             v_fmac_f32 v50, v4, v177 
             
	;;#ASMEND
	;;#ASMSTART
	
             v_fmac_f32 v49, v4, v178 
             
	;;#ASMEND
	;;#ASMSTART
	
             v_fmac_f32 v48, v4, v179 
             
	;;#ASMEND
	;;#ASMSTART
	
             v_fmac_f32 v35, v5, v176 
             
	;;#ASMEND
	;;#ASMSTART
	
             v_fmac_f32 v34, v5, v177 
             
	;;#ASMEND
	;;#ASMSTART
	
             v_fmac_f32 v33, v5, v178 
             
	;;#ASMEND
	;;#ASMSTART
	
             v_fmac_f32 v32, v5, v179 
             
	;;#ASMEND
	s_waitcnt lgkmcnt(1)
	;;#ASMSTART
	
             v_fmac_f32 v31, v2, v180 
             
	;;#ASMEND
	;;#ASMSTART
	
             v_fmac_f32 v147, v2, v181 
             
	;;#ASMEND
	;; [unrolled: 5-line block ×16, first 2 shown]
	ds_load_b128 v[2:5], v160 offset:4096
	s_waitcnt lgkmcnt(1)
	;;#ASMSTART
	
             v_fmac_f32 v129, v192, v176 
             
	;;#ASMEND
	;;#ASMSTART
	
             v_fmac_f32 v132, v192, v177 
             
	;;#ASMEND
	;; [unrolled: 5-line block ×16, first 2 shown]
	ds_load_b128 v[176:179], v161 offset:20480
	;;#ASMSTART
	
             v_fmac_f32 v38, v192, v180 
             
	;;#ASMEND
	;;#ASMSTART
	
             v_fmac_f32 v39, v192, v181 
             
	;;#ASMEND
	;; [unrolled: 5-line block ×16, first 2 shown]
	ds_load_b128 v[180:183], v161 offset:20736
	ds_load_b128 v[192:195], v160 offset:4352
	s_waitcnt lgkmcnt(2)
	;;#ASMSTART
	
             v_fmac_f32 v150, v2, v176 
             
	;;#ASMEND
	;;#ASMSTART
	
             v_fmac_f32 v151, v2, v177 
             
	;;#ASMEND
	;; [unrolled: 5-line block ×16, first 2 shown]
	s_waitcnt lgkmcnt(1)
	;;#ASMSTART
	
             v_fmac_f32 v31, v2, v180 
             
	;;#ASMEND
	;;#ASMSTART
	
             v_fmac_f32 v147, v2, v181 
             
	;;#ASMEND
	;; [unrolled: 5-line block ×16, first 2 shown]
	ds_load_b128 v[2:5], v160 offset:4608
	s_waitcnt lgkmcnt(1)
	;;#ASMSTART
	
             v_fmac_f32 v129, v192, v176 
             
	;;#ASMEND
	;;#ASMSTART
	
             v_fmac_f32 v132, v192, v177 
             
	;;#ASMEND
	;; [unrolled: 5-line block ×16, first 2 shown]
	ds_load_b128 v[176:179], v161 offset:20992
	;;#ASMSTART
	
             v_fmac_f32 v38, v192, v180 
             
	;;#ASMEND
	;;#ASMSTART
	
             v_fmac_f32 v39, v192, v181 
             
	;;#ASMEND
	;; [unrolled: 5-line block ×16, first 2 shown]
	ds_load_b128 v[180:183], v161 offset:21248
	ds_load_b128 v[192:195], v160 offset:4864
	s_waitcnt lgkmcnt(2)
	;;#ASMSTART
	
             v_fmac_f32 v150, v2, v176 
             
	;;#ASMEND
	;;#ASMSTART
	
             v_fmac_f32 v151, v2, v177 
             
	;;#ASMEND
	;; [unrolled: 5-line block ×16, first 2 shown]
	s_waitcnt lgkmcnt(1)
	;;#ASMSTART
	
             v_fmac_f32 v31, v2, v180 
             
	;;#ASMEND
	;;#ASMSTART
	
             v_fmac_f32 v147, v2, v181 
             
	;;#ASMEND
	;; [unrolled: 5-line block ×16, first 2 shown]
	ds_load_b128 v[2:5], v160 offset:5120
	s_waitcnt lgkmcnt(1)
	;;#ASMSTART
	
             v_fmac_f32 v129, v192, v176 
             
	;;#ASMEND
	;;#ASMSTART
	
             v_fmac_f32 v132, v192, v177 
             
	;;#ASMEND
	;; [unrolled: 5-line block ×16, first 2 shown]
	ds_load_b128 v[176:179], v161 offset:21504
	;;#ASMSTART
	
             v_fmac_f32 v38, v192, v180 
             
	;;#ASMEND
	;;#ASMSTART
	
             v_fmac_f32 v39, v192, v181 
             
	;;#ASMEND
	;; [unrolled: 5-line block ×16, first 2 shown]
	ds_load_b128 v[180:183], v161 offset:21760
	ds_load_b128 v[192:195], v160 offset:5376
	s_waitcnt lgkmcnt(2)
	;;#ASMSTART
	
             v_fmac_f32 v150, v2, v176 
             
	;;#ASMEND
	;;#ASMSTART
	
             v_fmac_f32 v151, v2, v177 
             
	;;#ASMEND
	;; [unrolled: 5-line block ×16, first 2 shown]
	s_waitcnt lgkmcnt(1)
	;;#ASMSTART
	
             v_fmac_f32 v31, v2, v180 
             
	;;#ASMEND
	;;#ASMSTART
	
             v_fmac_f32 v147, v2, v181 
             
	;;#ASMEND
	;; [unrolled: 5-line block ×16, first 2 shown]
	ds_load_b128 v[2:5], v160 offset:5632
	s_waitcnt lgkmcnt(1)
	;;#ASMSTART
	
             v_fmac_f32 v129, v192, v176 
             
	;;#ASMEND
	;;#ASMSTART
	
             v_fmac_f32 v132, v192, v177 
             
	;;#ASMEND
	;; [unrolled: 5-line block ×16, first 2 shown]
	ds_load_b128 v[176:179], v161 offset:22016
	;;#ASMSTART
	
             v_fmac_f32 v38, v192, v180 
             
	;;#ASMEND
	;;#ASMSTART
	
             v_fmac_f32 v39, v192, v181 
             
	;;#ASMEND
	;; [unrolled: 5-line block ×16, first 2 shown]
	ds_load_b128 v[180:183], v161 offset:22272
	ds_load_b128 v[192:195], v160 offset:5888
	s_waitcnt lgkmcnt(2)
	;;#ASMSTART
	
             v_fmac_f32 v150, v2, v176 
             
	;;#ASMEND
	;;#ASMSTART
	
             v_fmac_f32 v151, v2, v177 
             
	;;#ASMEND
	;; [unrolled: 5-line block ×16, first 2 shown]
	s_waitcnt lgkmcnt(1)
	;;#ASMSTART
	
             v_fmac_f32 v31, v2, v180 
             
	;;#ASMEND
	;;#ASMSTART
	
             v_fmac_f32 v147, v2, v181 
             
	;;#ASMEND
	;; [unrolled: 5-line block ×16, first 2 shown]
	ds_load_b128 v[2:5], v160 offset:6144
	s_waitcnt lgkmcnt(1)
	;;#ASMSTART
	
             v_fmac_f32 v129, v192, v176 
             
	;;#ASMEND
	;;#ASMSTART
	
             v_fmac_f32 v132, v192, v177 
             
	;;#ASMEND
	;; [unrolled: 5-line block ×16, first 2 shown]
	ds_load_b128 v[176:179], v161 offset:22528
	;;#ASMSTART
	
             v_fmac_f32 v38, v192, v180 
             
	;;#ASMEND
	;;#ASMSTART
	
             v_fmac_f32 v39, v192, v181 
             
	;;#ASMEND
	;;#ASMSTART
	
             v_fmac_f32 v36, v192, v182 
             
	;;#ASMEND
	;;#ASMSTART
	
             v_fmac_f32 v37, v192, v183 
             
	;;#ASMEND
	;;#ASMSTART
	
             v_fmac_f32 v86, v193, v180 
             
	;;#ASMEND
	;;#ASMSTART
	
             v_fmac_f32 v87, v193, v181 
             
	;;#ASMEND
	;;#ASMSTART
	
             v_fmac_f32 v84, v193, v182 
             
	;;#ASMEND
	;;#ASMSTART
	
             v_fmac_f32 v85, v193, v183 
             
	;;#ASMEND
	;;#ASMSTART
	
             v_fmac_f32 v102, v194, v180 
             
	;;#ASMEND
	;;#ASMSTART
	
             v_fmac_f32 v103, v194, v181 
             
	;;#ASMEND
	;;#ASMSTART
	
             v_fmac_f32 v100, v194, v182 
             
	;;#ASMEND
	;;#ASMSTART
	
             v_fmac_f32 v101, v194, v183 
             
	;;#ASMEND
	;;#ASMSTART
	
             v_fmac_f32 v119, v195, v180 
             
	;;#ASMEND
	;;#ASMSTART
	
             v_fmac_f32 v117, v195, v181 
             
	;;#ASMEND
	;;#ASMSTART
	
             v_fmac_f32 v118, v195, v182 
             
	;;#ASMEND
	;;#ASMSTART
	
             v_fmac_f32 v128, v195, v183 
             
	;;#ASMEND
	ds_load_b128 v[180:183], v161 offset:22784
	ds_load_b128 v[192:195], v160 offset:6400
	s_waitcnt lgkmcnt(2)
	;;#ASMSTART
	
             v_fmac_f32 v150, v2, v176 
             
	;;#ASMEND
	;;#ASMSTART
	
             v_fmac_f32 v151, v2, v177 
             
	;;#ASMEND
	;; [unrolled: 5-line block ×16, first 2 shown]
	s_waitcnt lgkmcnt(1)
	;;#ASMSTART
	
             v_fmac_f32 v31, v2, v180 
             
	;;#ASMEND
	;;#ASMSTART
	
             v_fmac_f32 v147, v2, v181 
             
	;;#ASMEND
	;; [unrolled: 5-line block ×16, first 2 shown]
	ds_load_b128 v[2:5], v160 offset:6656
	s_waitcnt lgkmcnt(1)
	;;#ASMSTART
	
             v_fmac_f32 v129, v192, v176 
             
	;;#ASMEND
	;;#ASMSTART
	
             v_fmac_f32 v132, v192, v177 
             
	;;#ASMEND
	;; [unrolled: 5-line block ×16, first 2 shown]
	ds_load_b128 v[176:179], v161 offset:23040
	;;#ASMSTART
	
             v_fmac_f32 v38, v192, v180 
             
	;;#ASMEND
	;;#ASMSTART
	
             v_fmac_f32 v39, v192, v181 
             
	;;#ASMEND
	;; [unrolled: 5-line block ×16, first 2 shown]
	ds_load_b128 v[180:183], v161 offset:23296
	ds_load_b128 v[192:195], v160 offset:6912
	s_waitcnt lgkmcnt(2)
	;;#ASMSTART
	
             v_fmac_f32 v150, v2, v176 
             
	;;#ASMEND
	;;#ASMSTART
	
             v_fmac_f32 v151, v2, v177 
             
	;;#ASMEND
	;; [unrolled: 5-line block ×16, first 2 shown]
	s_waitcnt lgkmcnt(1)
	;;#ASMSTART
	
             v_fmac_f32 v31, v2, v180 
             
	;;#ASMEND
	;;#ASMSTART
	
             v_fmac_f32 v147, v2, v181 
             
	;;#ASMEND
	;; [unrolled: 5-line block ×16, first 2 shown]
	ds_load_b128 v[2:5], v160 offset:7168
	s_waitcnt lgkmcnt(1)
	;;#ASMSTART
	
             v_fmac_f32 v129, v192, v176 
             
	;;#ASMEND
	;;#ASMSTART
	
             v_fmac_f32 v132, v192, v177 
             
	;;#ASMEND
	;; [unrolled: 5-line block ×16, first 2 shown]
	ds_load_b128 v[176:179], v161 offset:23552
	;;#ASMSTART
	
             v_fmac_f32 v38, v192, v180 
             
	;;#ASMEND
	;;#ASMSTART
	
             v_fmac_f32 v39, v192, v181 
             
	;;#ASMEND
	;; [unrolled: 5-line block ×16, first 2 shown]
	ds_load_b128 v[180:183], v161 offset:23808
	ds_load_b128 v[192:195], v160 offset:7424
	s_waitcnt lgkmcnt(2)
	;;#ASMSTART
	
             v_fmac_f32 v150, v2, v176 
             
	;;#ASMEND
	;;#ASMSTART
	
             v_fmac_f32 v151, v2, v177 
             
	;;#ASMEND
	;; [unrolled: 5-line block ×16, first 2 shown]
	s_waitcnt lgkmcnt(1)
	;;#ASMSTART
	
             v_fmac_f32 v31, v2, v180 
             
	;;#ASMEND
	;;#ASMSTART
	
             v_fmac_f32 v147, v2, v181 
             
	;;#ASMEND
	;; [unrolled: 5-line block ×16, first 2 shown]
	ds_load_b128 v[2:5], v160 offset:7680
	s_waitcnt lgkmcnt(1)
	;;#ASMSTART
	
             v_fmac_f32 v129, v192, v176 
             
	;;#ASMEND
	;;#ASMSTART
	
             v_fmac_f32 v132, v192, v177 
             
	;;#ASMEND
	;;#ASMSTART
	
             v_fmac_f32 v131, v192, v178 
             
	;;#ASMEND
	;;#ASMSTART
	
             v_fmac_f32 v130, v192, v179 
             
	;;#ASMEND
	;;#ASMSTART
	
             v_fmac_f32 v55, v193, v176 
             
	;;#ASMEND
	;;#ASMSTART
	
             v_fmac_f32 v54, v193, v177 
             
	;;#ASMEND
	;;#ASMSTART
	
             v_fmac_f32 v53, v193, v178 
             
	;;#ASMEND
	;;#ASMSTART
	
             v_fmac_f32 v52, v193, v179 
             
	;;#ASMEND
	;;#ASMSTART
	
             v_fmac_f32 v99, v194, v176 
             
	;;#ASMEND
	;;#ASMSTART
	
             v_fmac_f32 v98, v194, v177 
             
	;;#ASMEND
	;;#ASMSTART
	
             v_fmac_f32 v97, v194, v178 
             
	;;#ASMEND
	;;#ASMSTART
	
             v_fmac_f32 v96, v194, v179 
             
	;;#ASMEND
	;;#ASMSTART
	
             v_fmac_f32 v115, v195, v176 
             
	;;#ASMEND
	;;#ASMSTART
	
             v_fmac_f32 v114, v195, v177 
             
	;;#ASMEND
	;;#ASMSTART
	
             v_fmac_f32 v112, v195, v178 
             
	;;#ASMEND
	;;#ASMSTART
	
             v_fmac_f32 v113, v195, v179 
             
	;;#ASMEND
	ds_load_b128 v[176:179], v161 offset:24064
	;;#ASMSTART
	
             v_fmac_f32 v38, v192, v180 
             
	;;#ASMEND
	;;#ASMSTART
	
             v_fmac_f32 v39, v192, v181 
             
	;;#ASMEND
	;; [unrolled: 5-line block ×16, first 2 shown]
	ds_load_b128 v[180:183], v161 offset:24320
	ds_load_b128 v[8:11], v160 offset:7936
	s_waitcnt lgkmcnt(2)
	;;#ASMSTART
	
             v_fmac_f32 v150, v2, v176 
             
	;;#ASMEND
	;;#ASMSTART
	
             v_fmac_f32 v151, v2, v177 
             
	;;#ASMEND
	;; [unrolled: 5-line block ×16, first 2 shown]
	s_waitcnt lgkmcnt(1)
	;;#ASMSTART
	
             v_fmac_f32 v31, v2, v180 
             
	;;#ASMEND
	;;#ASMSTART
	
             v_fmac_f32 v147, v2, v181 
             
	;;#ASMEND
	;; [unrolled: 5-line block ×16, first 2 shown]
	s_waitcnt lgkmcnt(0)
	;;#ASMSTART
	
             v_fmac_f32 v129, v8, v176 
             
	;;#ASMEND
	;;#ASMSTART
	
             v_fmac_f32 v132, v8, v177 
             
	;;#ASMEND
	;; [unrolled: 5-line block ×32, first 2 shown]
	ds_store_2addr_stride64_b32 v163, v27, v26 offset0:2 offset1:4
	ds_store_2addr_stride64_b32 v163, v0, v25 offset0:6 offset1:8
	;; [unrolled: 1-line block ×7, first 2 shown]
	ds_store_b32 v163, v22 offset:3584
	ds_store_b32 v164, v28 offset:3584
	s_waitcnt lgkmcnt(0)
	s_barrier
	ds_load_b128 v[0:3], v160 offset:8192
	ds_load_b128 v[8:11], v161 offset:24576
	;; [unrolled: 1-line block ×4, first 2 shown]
	s_waitcnt lgkmcnt(2)
	;;#ASMSTART
	
             v_fmac_f32 v150, v0, v8 
             
	;;#ASMEND
	;;#ASMSTART
	
             v_fmac_f32 v151, v0, v9 
             
	;;#ASMEND
	;; [unrolled: 5-line block ×16, first 2 shown]
	s_waitcnt lgkmcnt(1)
	;;#ASMSTART
	
             v_fmac_f32 v31, v0, v16 
             
	;;#ASMEND
	;;#ASMSTART
	
             v_fmac_f32 v147, v0, v17 
             
	;;#ASMEND
	;; [unrolled: 5-line block ×16, first 2 shown]
	ds_load_b128 v[0:3], v160 offset:8704
	s_waitcnt lgkmcnt(1)
	;;#ASMSTART
	
             v_fmac_f32 v129, v22, v8 
             
	;;#ASMEND
	;;#ASMSTART
	
             v_fmac_f32 v132, v22, v9 
             
	;;#ASMEND
	;; [unrolled: 5-line block ×16, first 2 shown]
	ds_load_b128 v[8:11], v161 offset:25088
	;;#ASMSTART
	
             v_fmac_f32 v38, v22, v16 
             
	;;#ASMEND
	;;#ASMSTART
	
             v_fmac_f32 v39, v22, v17 
             
	;;#ASMEND
	;; [unrolled: 5-line block ×16, first 2 shown]
	ds_load_b128 v[16:19], v161 offset:25344
	ds_load_b128 v[22:25], v160 offset:8960
	s_waitcnt lgkmcnt(2)
	;;#ASMSTART
	
             v_fmac_f32 v150, v0, v8 
             
	;;#ASMEND
	;;#ASMSTART
	
             v_fmac_f32 v151, v0, v9 
             
	;;#ASMEND
	;; [unrolled: 5-line block ×16, first 2 shown]
	s_waitcnt lgkmcnt(1)
	;;#ASMSTART
	
             v_fmac_f32 v31, v0, v16 
             
	;;#ASMEND
	;;#ASMSTART
	
             v_fmac_f32 v147, v0, v17 
             
	;;#ASMEND
	;; [unrolled: 5-line block ×16, first 2 shown]
	ds_load_b128 v[0:3], v160 offset:9216
	s_waitcnt lgkmcnt(1)
	;;#ASMSTART
	
             v_fmac_f32 v129, v22, v8 
             
	;;#ASMEND
	;;#ASMSTART
	
             v_fmac_f32 v132, v22, v9 
             
	;;#ASMEND
	;; [unrolled: 5-line block ×16, first 2 shown]
	ds_load_b128 v[8:11], v161 offset:25600
	;;#ASMSTART
	
             v_fmac_f32 v38, v22, v16 
             
	;;#ASMEND
	;;#ASMSTART
	
             v_fmac_f32 v39, v22, v17 
             
	;;#ASMEND
	;; [unrolled: 5-line block ×16, first 2 shown]
	ds_load_b128 v[16:19], v161 offset:25856
	ds_load_b128 v[22:25], v160 offset:9472
	s_waitcnt lgkmcnt(2)
	;;#ASMSTART
	
             v_fmac_f32 v150, v0, v8 
             
	;;#ASMEND
	;;#ASMSTART
	
             v_fmac_f32 v151, v0, v9 
             
	;;#ASMEND
	;; [unrolled: 5-line block ×16, first 2 shown]
	s_waitcnt lgkmcnt(1)
	;;#ASMSTART
	
             v_fmac_f32 v31, v0, v16 
             
	;;#ASMEND
	;;#ASMSTART
	
             v_fmac_f32 v147, v0, v17 
             
	;;#ASMEND
	;; [unrolled: 5-line block ×16, first 2 shown]
	ds_load_b128 v[0:3], v160 offset:9728
	s_waitcnt lgkmcnt(1)
	;;#ASMSTART
	
             v_fmac_f32 v129, v22, v8 
             
	;;#ASMEND
	;;#ASMSTART
	
             v_fmac_f32 v132, v22, v9 
             
	;;#ASMEND
	;; [unrolled: 5-line block ×16, first 2 shown]
	ds_load_b128 v[8:11], v161 offset:26112
	;;#ASMSTART
	
             v_fmac_f32 v38, v22, v16 
             
	;;#ASMEND
	;;#ASMSTART
	
             v_fmac_f32 v39, v22, v17 
             
	;;#ASMEND
	;; [unrolled: 5-line block ×16, first 2 shown]
	ds_load_b128 v[16:19], v161 offset:26368
	ds_load_b128 v[22:25], v160 offset:9984
	s_waitcnt lgkmcnt(2)
	;;#ASMSTART
	
             v_fmac_f32 v150, v0, v8 
             
	;;#ASMEND
	;;#ASMSTART
	
             v_fmac_f32 v151, v0, v9 
             
	;;#ASMEND
	;; [unrolled: 5-line block ×16, first 2 shown]
	s_waitcnt lgkmcnt(1)
	;;#ASMSTART
	
             v_fmac_f32 v31, v0, v16 
             
	;;#ASMEND
	;;#ASMSTART
	
             v_fmac_f32 v147, v0, v17 
             
	;;#ASMEND
	;;#ASMSTART
	
             v_fmac_f32 v29, v0, v18 
             
	;;#ASMEND
	;;#ASMSTART
	
             v_fmac_f32 v30, v0, v19 
             
	;;#ASMEND
	;;#ASMSTART
	
             v_fmac_f32 v133, v1, v16 
             
	;;#ASMEND
	;;#ASMSTART
	
             v_fmac_f32 v134, v1, v17 
             
	;;#ASMEND
	;;#ASMSTART
	
             v_fmac_f32 v70, v1, v18 
             
	;;#ASMEND
	;;#ASMSTART
	
             v_fmac_f32 v71, v1, v19 
             
	;;#ASMEND
	;;#ASMSTART
	
             v_fmac_f32 v66, v2, v16 
             
	;;#ASMEND
	;;#ASMSTART
	
             v_fmac_f32 v67, v2, v17 
             
	;;#ASMEND
	;;#ASMSTART
	
             v_fmac_f32 v64, v2, v18 
             
	;;#ASMEND
	;;#ASMSTART
	
             v_fmac_f32 v65, v2, v19 
             
	;;#ASMEND
	;;#ASMSTART
	
             v_fmac_f32 v83, v3, v16 
             
	;;#ASMEND
	;;#ASMSTART
	
             v_fmac_f32 v82, v3, v17 
             
	;;#ASMEND
	;;#ASMSTART
	
             v_fmac_f32 v80, v3, v18 
             
	;;#ASMEND
	;;#ASMSTART
	
             v_fmac_f32 v81, v3, v19 
             
	;;#ASMEND
	ds_load_b128 v[0:3], v160 offset:10240
	s_waitcnt lgkmcnt(1)
	;;#ASMSTART
	
             v_fmac_f32 v129, v22, v8 
             
	;;#ASMEND
	;;#ASMSTART
	
             v_fmac_f32 v132, v22, v9 
             
	;;#ASMEND
	;;#ASMSTART
	
             v_fmac_f32 v131, v22, v10 
             
	;;#ASMEND
	;;#ASMSTART
	
             v_fmac_f32 v130, v22, v11 
             
	;;#ASMEND
	;;#ASMSTART
	
             v_fmac_f32 v55, v23, v8 
             
	;;#ASMEND
	;;#ASMSTART
	
             v_fmac_f32 v54, v23, v9 
             
	;;#ASMEND
	;;#ASMSTART
	
             v_fmac_f32 v53, v23, v10 
             
	;;#ASMEND
	;;#ASMSTART
	
             v_fmac_f32 v52, v23, v11 
             
	;;#ASMEND
	;;#ASMSTART
	
             v_fmac_f32 v99, v24, v8 
             
	;;#ASMEND
	;;#ASMSTART
	
             v_fmac_f32 v98, v24, v9 
             
	;;#ASMEND
	;;#ASMSTART
	
             v_fmac_f32 v97, v24, v10 
             
	;;#ASMEND
	;;#ASMSTART
	
             v_fmac_f32 v96, v24, v11 
             
	;;#ASMEND
	;;#ASMSTART
	
             v_fmac_f32 v115, v25, v8 
             
	;;#ASMEND
	;;#ASMSTART
	
             v_fmac_f32 v114, v25, v9 
             
	;;#ASMEND
	;;#ASMSTART
	
             v_fmac_f32 v112, v25, v10 
             
	;;#ASMEND
	;;#ASMSTART
	
             v_fmac_f32 v113, v25, v11 
             
	;;#ASMEND
	ds_load_b128 v[8:11], v161 offset:26624
	;;#ASMSTART
	
             v_fmac_f32 v38, v22, v16 
             
	;;#ASMEND
	;;#ASMSTART
	
             v_fmac_f32 v39, v22, v17 
             
	;;#ASMEND
	;; [unrolled: 5-line block ×16, first 2 shown]
	ds_load_b128 v[16:19], v161 offset:26880
	ds_load_b128 v[22:25], v160 offset:10496
	s_waitcnt lgkmcnt(2)
	;;#ASMSTART
	
             v_fmac_f32 v150, v0, v8 
             
	;;#ASMEND
	;;#ASMSTART
	
             v_fmac_f32 v151, v0, v9 
             
	;;#ASMEND
	;; [unrolled: 5-line block ×16, first 2 shown]
	s_waitcnt lgkmcnt(1)
	;;#ASMSTART
	
             v_fmac_f32 v31, v0, v16 
             
	;;#ASMEND
	;;#ASMSTART
	
             v_fmac_f32 v147, v0, v17 
             
	;;#ASMEND
	;; [unrolled: 5-line block ×16, first 2 shown]
	ds_load_b128 v[0:3], v160 offset:10752
	s_waitcnt lgkmcnt(1)
	;;#ASMSTART
	
             v_fmac_f32 v129, v22, v8 
             
	;;#ASMEND
	;;#ASMSTART
	
             v_fmac_f32 v132, v22, v9 
             
	;;#ASMEND
	;; [unrolled: 5-line block ×16, first 2 shown]
	ds_load_b128 v[8:11], v161 offset:27136
	;;#ASMSTART
	
             v_fmac_f32 v38, v22, v16 
             
	;;#ASMEND
	;;#ASMSTART
	
             v_fmac_f32 v39, v22, v17 
             
	;;#ASMEND
	;; [unrolled: 5-line block ×16, first 2 shown]
	ds_load_b128 v[16:19], v161 offset:27392
	ds_load_b128 v[22:25], v160 offset:11008
	s_waitcnt lgkmcnt(2)
	;;#ASMSTART
	
             v_fmac_f32 v150, v0, v8 
             
	;;#ASMEND
	;;#ASMSTART
	
             v_fmac_f32 v151, v0, v9 
             
	;;#ASMEND
	;; [unrolled: 5-line block ×16, first 2 shown]
	s_waitcnt lgkmcnt(1)
	;;#ASMSTART
	
             v_fmac_f32 v31, v0, v16 
             
	;;#ASMEND
	;;#ASMSTART
	
             v_fmac_f32 v147, v0, v17 
             
	;;#ASMEND
	;; [unrolled: 5-line block ×16, first 2 shown]
	ds_load_b128 v[0:3], v160 offset:11264
	s_waitcnt lgkmcnt(1)
	;;#ASMSTART
	
             v_fmac_f32 v129, v22, v8 
             
	;;#ASMEND
	;;#ASMSTART
	
             v_fmac_f32 v132, v22, v9 
             
	;;#ASMEND
	;; [unrolled: 5-line block ×16, first 2 shown]
	ds_load_b128 v[8:11], v161 offset:27648
	;;#ASMSTART
	
             v_fmac_f32 v38, v22, v16 
             
	;;#ASMEND
	;;#ASMSTART
	
             v_fmac_f32 v39, v22, v17 
             
	;;#ASMEND
	;; [unrolled: 5-line block ×16, first 2 shown]
	ds_load_b128 v[16:19], v161 offset:27904
	ds_load_b128 v[22:25], v160 offset:11520
	s_waitcnt lgkmcnt(2)
	;;#ASMSTART
	
             v_fmac_f32 v150, v0, v8 
             
	;;#ASMEND
	;;#ASMSTART
	
             v_fmac_f32 v151, v0, v9 
             
	;;#ASMEND
	;; [unrolled: 5-line block ×16, first 2 shown]
	s_waitcnt lgkmcnt(1)
	;;#ASMSTART
	
             v_fmac_f32 v31, v0, v16 
             
	;;#ASMEND
	;;#ASMSTART
	
             v_fmac_f32 v147, v0, v17 
             
	;;#ASMEND
	;; [unrolled: 5-line block ×16, first 2 shown]
	ds_load_b128 v[0:3], v160 offset:11776
	s_waitcnt lgkmcnt(1)
	;;#ASMSTART
	
             v_fmac_f32 v129, v22, v8 
             
	;;#ASMEND
	;;#ASMSTART
	
             v_fmac_f32 v132, v22, v9 
             
	;;#ASMEND
	;; [unrolled: 5-line block ×16, first 2 shown]
	ds_load_b128 v[8:11], v161 offset:28160
	;;#ASMSTART
	
             v_fmac_f32 v38, v22, v16 
             
	;;#ASMEND
	;;#ASMSTART
	
             v_fmac_f32 v39, v22, v17 
             
	;;#ASMEND
	;; [unrolled: 5-line block ×16, first 2 shown]
	ds_load_b128 v[16:19], v161 offset:28416
	ds_load_b128 v[22:25], v160 offset:12032
	s_waitcnt lgkmcnt(2)
	;;#ASMSTART
	
             v_fmac_f32 v150, v0, v8 
             
	;;#ASMEND
	;;#ASMSTART
	
             v_fmac_f32 v151, v0, v9 
             
	;;#ASMEND
	;; [unrolled: 5-line block ×16, first 2 shown]
	s_waitcnt lgkmcnt(1)
	;;#ASMSTART
	
             v_fmac_f32 v31, v0, v16 
             
	;;#ASMEND
	;;#ASMSTART
	
             v_fmac_f32 v147, v0, v17 
             
	;;#ASMEND
	;; [unrolled: 5-line block ×16, first 2 shown]
	ds_load_b128 v[0:3], v160 offset:12288
	s_waitcnt lgkmcnt(1)
	;;#ASMSTART
	
             v_fmac_f32 v129, v22, v8 
             
	;;#ASMEND
	;;#ASMSTART
	
             v_fmac_f32 v132, v22, v9 
             
	;;#ASMEND
	;; [unrolled: 5-line block ×16, first 2 shown]
	ds_load_b128 v[8:11], v161 offset:28672
	;;#ASMSTART
	
             v_fmac_f32 v38, v22, v16 
             
	;;#ASMEND
	;;#ASMSTART
	
             v_fmac_f32 v39, v22, v17 
             
	;;#ASMEND
	;;#ASMSTART
	
             v_fmac_f32 v36, v22, v18 
             
	;;#ASMEND
	;;#ASMSTART
	
             v_fmac_f32 v37, v22, v19 
             
	;;#ASMEND
	;;#ASMSTART
	
             v_fmac_f32 v86, v23, v16 
             
	;;#ASMEND
	;;#ASMSTART
	
             v_fmac_f32 v87, v23, v17 
             
	;;#ASMEND
	;;#ASMSTART
	
             v_fmac_f32 v84, v23, v18 
             
	;;#ASMEND
	;;#ASMSTART
	
             v_fmac_f32 v85, v23, v19 
             
	;;#ASMEND
	;;#ASMSTART
	
             v_fmac_f32 v102, v24, v16 
             
	;;#ASMEND
	;;#ASMSTART
	
             v_fmac_f32 v103, v24, v17 
             
	;;#ASMEND
	;;#ASMSTART
	
             v_fmac_f32 v100, v24, v18 
             
	;;#ASMEND
	;;#ASMSTART
	
             v_fmac_f32 v101, v24, v19 
             
	;;#ASMEND
	;;#ASMSTART
	
             v_fmac_f32 v119, v25, v16 
             
	;;#ASMEND
	;;#ASMSTART
	
             v_fmac_f32 v117, v25, v17 
             
	;;#ASMEND
	;;#ASMSTART
	
             v_fmac_f32 v118, v25, v18 
             
	;;#ASMEND
	;;#ASMSTART
	
             v_fmac_f32 v128, v25, v19 
             
	;;#ASMEND
	ds_load_b128 v[16:19], v161 offset:28928
	ds_load_b128 v[22:25], v160 offset:12544
	s_waitcnt lgkmcnt(2)
	;;#ASMSTART
	
             v_fmac_f32 v150, v0, v8 
             
	;;#ASMEND
	;;#ASMSTART
	
             v_fmac_f32 v151, v0, v9 
             
	;;#ASMEND
	;; [unrolled: 5-line block ×16, first 2 shown]
	s_waitcnt lgkmcnt(1)
	;;#ASMSTART
	
             v_fmac_f32 v31, v0, v16 
             
	;;#ASMEND
	;;#ASMSTART
	
             v_fmac_f32 v147, v0, v17 
             
	;;#ASMEND
	;; [unrolled: 5-line block ×16, first 2 shown]
	ds_load_b128 v[0:3], v160 offset:12800
	s_waitcnt lgkmcnt(1)
	;;#ASMSTART
	
             v_fmac_f32 v129, v22, v8 
             
	;;#ASMEND
	;;#ASMSTART
	
             v_fmac_f32 v132, v22, v9 
             
	;;#ASMEND
	;; [unrolled: 5-line block ×16, first 2 shown]
	ds_load_b128 v[8:11], v161 offset:29184
	;;#ASMSTART
	
             v_fmac_f32 v38, v22, v16 
             
	;;#ASMEND
	;;#ASMSTART
	
             v_fmac_f32 v39, v22, v17 
             
	;;#ASMEND
	;; [unrolled: 5-line block ×16, first 2 shown]
	ds_load_b128 v[16:19], v161 offset:29440
	ds_load_b128 v[22:25], v160 offset:13056
	s_waitcnt lgkmcnt(2)
	;;#ASMSTART
	
             v_fmac_f32 v150, v0, v8 
             
	;;#ASMEND
	;;#ASMSTART
	
             v_fmac_f32 v151, v0, v9 
             
	;;#ASMEND
	;; [unrolled: 5-line block ×16, first 2 shown]
	s_waitcnt lgkmcnt(1)
	;;#ASMSTART
	
             v_fmac_f32 v31, v0, v16 
             
	;;#ASMEND
	;;#ASMSTART
	
             v_fmac_f32 v147, v0, v17 
             
	;;#ASMEND
	;; [unrolled: 5-line block ×16, first 2 shown]
	ds_load_b128 v[0:3], v160 offset:13312
	s_waitcnt lgkmcnt(1)
	;;#ASMSTART
	
             v_fmac_f32 v129, v22, v8 
             
	;;#ASMEND
	;;#ASMSTART
	
             v_fmac_f32 v132, v22, v9 
             
	;;#ASMEND
	;; [unrolled: 5-line block ×16, first 2 shown]
	ds_load_b128 v[8:11], v161 offset:29696
	;;#ASMSTART
	
             v_fmac_f32 v38, v22, v16 
             
	;;#ASMEND
	;;#ASMSTART
	
             v_fmac_f32 v39, v22, v17 
             
	;;#ASMEND
	;; [unrolled: 5-line block ×16, first 2 shown]
	ds_load_b128 v[16:19], v161 offset:29952
	ds_load_b128 v[22:25], v160 offset:13568
	s_waitcnt lgkmcnt(2)
	;;#ASMSTART
	
             v_fmac_f32 v150, v0, v8 
             
	;;#ASMEND
	;;#ASMSTART
	
             v_fmac_f32 v151, v0, v9 
             
	;;#ASMEND
	;; [unrolled: 5-line block ×16, first 2 shown]
	s_waitcnt lgkmcnt(1)
	;;#ASMSTART
	
             v_fmac_f32 v31, v0, v16 
             
	;;#ASMEND
	;;#ASMSTART
	
             v_fmac_f32 v147, v0, v17 
             
	;;#ASMEND
	;;#ASMSTART
	
             v_fmac_f32 v29, v0, v18 
             
	;;#ASMEND
	;;#ASMSTART
	
             v_fmac_f32 v30, v0, v19 
             
	;;#ASMEND
	;;#ASMSTART
	
             v_fmac_f32 v133, v1, v16 
             
	;;#ASMEND
	;;#ASMSTART
	
             v_fmac_f32 v134, v1, v17 
             
	;;#ASMEND
	;;#ASMSTART
	
             v_fmac_f32 v70, v1, v18 
             
	;;#ASMEND
	;;#ASMSTART
	
             v_fmac_f32 v71, v1, v19 
             
	;;#ASMEND
	;;#ASMSTART
	
             v_fmac_f32 v66, v2, v16 
             
	;;#ASMEND
	;;#ASMSTART
	
             v_fmac_f32 v67, v2, v17 
             
	;;#ASMEND
	;;#ASMSTART
	
             v_fmac_f32 v64, v2, v18 
             
	;;#ASMEND
	;;#ASMSTART
	
             v_fmac_f32 v65, v2, v19 
             
	;;#ASMEND
	;;#ASMSTART
	
             v_fmac_f32 v83, v3, v16 
             
	;;#ASMEND
	;;#ASMSTART
	
             v_fmac_f32 v82, v3, v17 
             
	;;#ASMEND
	;;#ASMSTART
	
             v_fmac_f32 v80, v3, v18 
             
	;;#ASMEND
	;;#ASMSTART
	
             v_fmac_f32 v81, v3, v19 
             
	;;#ASMEND
	ds_load_b128 v[0:3], v160 offset:13824
	s_waitcnt lgkmcnt(1)
	;;#ASMSTART
	
             v_fmac_f32 v129, v22, v8 
             
	;;#ASMEND
	;;#ASMSTART
	
             v_fmac_f32 v132, v22, v9 
             
	;;#ASMEND
	;; [unrolled: 5-line block ×16, first 2 shown]
	ds_load_b128 v[8:11], v161 offset:30208
	;;#ASMSTART
	
             v_fmac_f32 v38, v22, v16 
             
	;;#ASMEND
	;;#ASMSTART
	
             v_fmac_f32 v39, v22, v17 
             
	;;#ASMEND
	;; [unrolled: 5-line block ×16, first 2 shown]
	ds_load_b128 v[16:19], v161 offset:30464
	ds_load_b128 v[22:25], v160 offset:14080
	s_waitcnt lgkmcnt(2)
	;;#ASMSTART
	
             v_fmac_f32 v150, v0, v8 
             
	;;#ASMEND
	;;#ASMSTART
	
             v_fmac_f32 v151, v0, v9 
             
	;;#ASMEND
	;; [unrolled: 5-line block ×16, first 2 shown]
	s_waitcnt lgkmcnt(1)
	;;#ASMSTART
	
             v_fmac_f32 v31, v0, v16 
             
	;;#ASMEND
	;;#ASMSTART
	
             v_fmac_f32 v147, v0, v17 
             
	;;#ASMEND
	;;#ASMSTART
	
             v_fmac_f32 v29, v0, v18 
             
	;;#ASMEND
	;;#ASMSTART
	
             v_fmac_f32 v30, v0, v19 
             
	;;#ASMEND
	;;#ASMSTART
	
             v_fmac_f32 v133, v1, v16 
             
	;;#ASMEND
	;;#ASMSTART
	
             v_fmac_f32 v134, v1, v17 
             
	;;#ASMEND
	;;#ASMSTART
	
             v_fmac_f32 v70, v1, v18 
             
	;;#ASMEND
	;;#ASMSTART
	
             v_fmac_f32 v71, v1, v19 
             
	;;#ASMEND
	;;#ASMSTART
	
             v_fmac_f32 v66, v2, v16 
             
	;;#ASMEND
	;;#ASMSTART
	
             v_fmac_f32 v67, v2, v17 
             
	;;#ASMEND
	;;#ASMSTART
	
             v_fmac_f32 v64, v2, v18 
             
	;;#ASMEND
	;;#ASMSTART
	
             v_fmac_f32 v65, v2, v19 
             
	;;#ASMEND
	;;#ASMSTART
	
             v_fmac_f32 v83, v3, v16 
             
	;;#ASMEND
	;;#ASMSTART
	
             v_fmac_f32 v82, v3, v17 
             
	;;#ASMEND
	;;#ASMSTART
	
             v_fmac_f32 v80, v3, v18 
             
	;;#ASMEND
	;;#ASMSTART
	
             v_fmac_f32 v81, v3, v19 
             
	;;#ASMEND
	ds_load_b128 v[0:3], v160 offset:14336
	s_waitcnt lgkmcnt(1)
	;;#ASMSTART
	
             v_fmac_f32 v129, v22, v8 
             
	;;#ASMEND
	;;#ASMSTART
	
             v_fmac_f32 v132, v22, v9 
             
	;;#ASMEND
	;; [unrolled: 5-line block ×16, first 2 shown]
	ds_load_b128 v[8:11], v161 offset:30720
	;;#ASMSTART
	
             v_fmac_f32 v38, v22, v16 
             
	;;#ASMEND
	;;#ASMSTART
	
             v_fmac_f32 v39, v22, v17 
             
	;;#ASMEND
	;; [unrolled: 5-line block ×16, first 2 shown]
	ds_load_b128 v[16:19], v161 offset:30976
	ds_load_b128 v[22:25], v160 offset:14592
	s_waitcnt lgkmcnt(2)
	;;#ASMSTART
	
             v_fmac_f32 v150, v0, v8 
             
	;;#ASMEND
	;;#ASMSTART
	
             v_fmac_f32 v151, v0, v9 
             
	;;#ASMEND
	;; [unrolled: 5-line block ×16, first 2 shown]
	s_waitcnt lgkmcnt(1)
	;;#ASMSTART
	
             v_fmac_f32 v31, v0, v16 
             
	;;#ASMEND
	;;#ASMSTART
	
             v_fmac_f32 v147, v0, v17 
             
	;;#ASMEND
	;; [unrolled: 5-line block ×16, first 2 shown]
	ds_load_b128 v[0:3], v160 offset:14848
	s_waitcnt lgkmcnt(1)
	;;#ASMSTART
	
             v_fmac_f32 v129, v22, v8 
             
	;;#ASMEND
	;;#ASMSTART
	
             v_fmac_f32 v132, v22, v9 
             
	;;#ASMEND
	;; [unrolled: 5-line block ×16, first 2 shown]
	ds_load_b128 v[8:11], v161 offset:31232
	;;#ASMSTART
	
             v_fmac_f32 v38, v22, v16 
             
	;;#ASMEND
	;;#ASMSTART
	
             v_fmac_f32 v39, v22, v17 
             
	;;#ASMEND
	;; [unrolled: 5-line block ×16, first 2 shown]
	ds_load_b128 v[16:19], v161 offset:31488
	ds_load_b128 v[22:25], v160 offset:15104
	s_waitcnt lgkmcnt(2)
	;;#ASMSTART
	
             v_fmac_f32 v150, v0, v8 
             
	;;#ASMEND
	;;#ASMSTART
	
             v_fmac_f32 v151, v0, v9 
             
	;;#ASMEND
	;;#ASMSTART
	
             v_fmac_f32 v148, v0, v10 
             
	;;#ASMEND
	;;#ASMSTART
	
             v_fmac_f32 v149, v0, v11 
             
	;;#ASMEND
	;;#ASMSTART
	
             v_fmac_f32 v146, v1, v8 
             
	;;#ASMEND
	;;#ASMSTART
	
             v_fmac_f32 v145, v1, v9 
             
	;;#ASMEND
	;;#ASMSTART
	
             v_fmac_f32 v144, v1, v10 
             
	;;#ASMEND
	;;#ASMSTART
	
             v_fmac_f32 v135, v1, v11 
             
	;;#ASMEND
	;;#ASMSTART
	
             v_fmac_f32 v51, v2, v8 
             
	;;#ASMEND
	;;#ASMSTART
	
             v_fmac_f32 v50, v2, v9 
             
	;;#ASMEND
	;;#ASMSTART
	
             v_fmac_f32 v49, v2, v10 
             
	;;#ASMEND
	;;#ASMSTART
	
             v_fmac_f32 v48, v2, v11 
             
	;;#ASMEND
	;;#ASMSTART
	
             v_fmac_f32 v35, v3, v8 
             
	;;#ASMEND
	;;#ASMSTART
	
             v_fmac_f32 v34, v3, v9 
             
	;;#ASMEND
	;;#ASMSTART
	
             v_fmac_f32 v33, v3, v10 
             
	;;#ASMEND
	;;#ASMSTART
	
             v_fmac_f32 v32, v3, v11 
             
	;;#ASMEND
	s_waitcnt lgkmcnt(1)
	;;#ASMSTART
	
             v_fmac_f32 v31, v0, v16 
             
	;;#ASMEND
	;;#ASMSTART
	
             v_fmac_f32 v147, v0, v17 
             
	;;#ASMEND
	;; [unrolled: 5-line block ×16, first 2 shown]
	ds_load_b128 v[0:3], v160 offset:15360
	s_waitcnt lgkmcnt(1)
	;;#ASMSTART
	
             v_fmac_f32 v129, v22, v8 
             
	;;#ASMEND
	;;#ASMSTART
	
             v_fmac_f32 v132, v22, v9 
             
	;;#ASMEND
	;; [unrolled: 5-line block ×16, first 2 shown]
	ds_load_b128 v[8:11], v161 offset:31744
	;;#ASMSTART
	
             v_fmac_f32 v38, v22, v16 
             
	;;#ASMEND
	;;#ASMSTART
	
             v_fmac_f32 v39, v22, v17 
             
	;;#ASMEND
	;; [unrolled: 5-line block ×16, first 2 shown]
	ds_load_b128 v[16:19], v161 offset:32000
	ds_load_b128 v[22:25], v160 offset:15616
	s_waitcnt lgkmcnt(2)
	;;#ASMSTART
	
             v_fmac_f32 v150, v0, v8 
             
	;;#ASMEND
	;;#ASMSTART
	
             v_fmac_f32 v151, v0, v9 
             
	;;#ASMEND
	;; [unrolled: 5-line block ×16, first 2 shown]
	s_waitcnt lgkmcnt(1)
	;;#ASMSTART
	
             v_fmac_f32 v31, v0, v16 
             
	;;#ASMEND
	;;#ASMSTART
	
             v_fmac_f32 v147, v0, v17 
             
	;;#ASMEND
	;; [unrolled: 5-line block ×16, first 2 shown]
	ds_load_b128 v[0:3], v160 offset:15872
	s_waitcnt lgkmcnt(1)
	;;#ASMSTART
	
             v_fmac_f32 v129, v22, v8 
             
	;;#ASMEND
	;;#ASMSTART
	
             v_fmac_f32 v132, v22, v9 
             
	;;#ASMEND
	;;#ASMSTART
	
             v_fmac_f32 v131, v22, v10 
             
	;;#ASMEND
	;;#ASMSTART
	
             v_fmac_f32 v130, v22, v11 
             
	;;#ASMEND
	;;#ASMSTART
	
             v_fmac_f32 v55, v23, v8 
             
	;;#ASMEND
	;;#ASMSTART
	
             v_fmac_f32 v54, v23, v9 
             
	;;#ASMEND
	;;#ASMSTART
	
             v_fmac_f32 v53, v23, v10 
             
	;;#ASMEND
	;;#ASMSTART
	
             v_fmac_f32 v52, v23, v11 
             
	;;#ASMEND
	;;#ASMSTART
	
             v_fmac_f32 v99, v24, v8 
             
	;;#ASMEND
	;;#ASMSTART
	
             v_fmac_f32 v98, v24, v9 
             
	;;#ASMEND
	;;#ASMSTART
	
             v_fmac_f32 v97, v24, v10 
             
	;;#ASMEND
	;;#ASMSTART
	
             v_fmac_f32 v96, v24, v11 
             
	;;#ASMEND
	;;#ASMSTART
	
             v_fmac_f32 v115, v25, v8 
             
	;;#ASMEND
	;;#ASMSTART
	
             v_fmac_f32 v114, v25, v9 
             
	;;#ASMEND
	;;#ASMSTART
	
             v_fmac_f32 v112, v25, v10 
             
	;;#ASMEND
	;;#ASMSTART
	
             v_fmac_f32 v113, v25, v11 
             
	;;#ASMEND
	ds_load_b128 v[8:11], v161 offset:32256
	;;#ASMSTART
	
             v_fmac_f32 v38, v22, v16 
             
	;;#ASMEND
	;;#ASMSTART
	
             v_fmac_f32 v39, v22, v17 
             
	;;#ASMEND
	;; [unrolled: 5-line block ×16, first 2 shown]
	ds_load_b128 v[16:19], v161 offset:32512
	ds_load_b128 v[22:25], v160 offset:16128
	s_waitcnt lgkmcnt(2)
	;;#ASMSTART
	
             v_fmac_f32 v150, v0, v8 
             
	;;#ASMEND
	;;#ASMSTART
	
             v_fmac_f32 v151, v0, v9 
             
	;;#ASMEND
	;; [unrolled: 5-line block ×16, first 2 shown]
	s_waitcnt lgkmcnt(1)
	;;#ASMSTART
	
             v_fmac_f32 v31, v0, v16 
             
	;;#ASMEND
	;;#ASMSTART
	
             v_fmac_f32 v147, v0, v17 
             
	;;#ASMEND
	;; [unrolled: 5-line block ×16, first 2 shown]
	s_waitcnt lgkmcnt(0)
	;;#ASMSTART
	
             v_fmac_f32 v129, v22, v8 
             
	;;#ASMEND
	;;#ASMSTART
	
             v_fmac_f32 v132, v22, v9 
             
	;;#ASMEND
	;; [unrolled: 5-line block ×32, first 2 shown]
	s_clause 0x3
	flat_load_b64 v[4:5], v[12:13] offset:8
	flat_load_b32 v10, v[12:13] offset:32
	flat_load_b32 v163, v[12:13] offset:20
	;; [unrolled: 1-line block ×3, first 2 shown]
	v_lshl_add_u32 v162, s8, 7, v69
	v_lshl_add_u32 v160, s9, 7, v68
	v_mov_b32_e32 v23, 0x31004000
	s_mov_b32 s8, exec_lo
	s_waitcnt vmcnt(3) lgkmcnt(3)
	v_mul_lo_u32 v0, v4, v162
	s_waitcnt vmcnt(2) lgkmcnt(2)
	v_cmp_gt_i32_e32 vcc_lo, v10, v160
	s_waitcnt vmcnt(1) lgkmcnt(1)
	v_cmp_gt_i32_e64 s1, v163, v162
	s_waitcnt vmcnt(0) lgkmcnt(0)
	v_lshlrev_b32_e32 v22, 2, v1
	s_delay_alu instid0(VALU_DEP_2) | instskip(SKIP_1) | instid1(VALU_DEP_1)
	s_and_b32 s0, s1, vcc_lo
	v_mad_u64_u32 v[8:9], null, v5, v160, v[0:1]
	v_lshlrev_b32_e32 v9, 2, v8
.LBB1_35:                               ; =>This Inner Loop Header: Depth=1
	v_readfirstlane_b32 s4, v20
	v_readfirstlane_b32 s5, v21
	;; [unrolled: 1-line block ×4, first 2 shown]
	s_delay_alu instid0(VALU_DEP_3) | instskip(NEXT) | instid1(VALU_DEP_2)
	v_cmp_eq_u64_e64 s2, s[4:5], v[20:21]
	v_cmp_eq_u64_e64 s3, s[6:7], v[22:23]
	s_delay_alu instid0(VALU_DEP_1) | instskip(NEXT) | instid1(SALU_CYCLE_1)
	s_and_b32 s2, s2, s3
	s_and_saveexec_b32 s2, s2
	buffer_load_b128 v[0:3], v9, s[4:7], 0 offen
                                        ; implicit-def: $vgpr9
	s_xor_b32 exec_lo, exec_lo, s2
	s_cbranch_execnz .LBB1_35
; %bb.36:
	s_mov_b32 exec_lo, s8
	s_waitcnt vmcnt(0)
	v_cndmask_b32_e64 v0, 0, v0, s0
	v_cndmask_b32_e64 v1, 0, v1, s0
	;; [unrolled: 1-line block ×4, first 2 shown]
	v_add_nc_u32_e32 v161, 64, v160
	s_delay_alu instid0(VALU_DEP_4) | instskip(NEXT) | instid1(VALU_DEP_4)
	v_dual_add_f32 v0, v150, v0 :: v_dual_add_f32 v1, v151, v1
	v_dual_add_f32 v3, v149, v3 :: v_dual_lshlrev_b32 v150, 6, v5
	s_delay_alu instid0(VALU_DEP_4) | instskip(NEXT) | instid1(VALU_DEP_4)
	v_add_f32_e32 v2, v148, v2
	v_cmp_gt_i32_e64 s0, v10, v161
	s_delay_alu instid0(VALU_DEP_4) | instskip(NEXT) | instid1(VALU_DEP_3)
	v_dual_max_f32 v24, 0, v0 :: v_dual_max_f32 v25, 0, v1
	v_dual_max_f32 v27, 0, v3 :: v_dual_max_f32 v26, 0, v2
	v_add_lshl_u32 v5, v8, v150, 2
	s_delay_alu instid0(VALU_DEP_4)
	s_and_b32 s1, s1, s0
	s_mov_b32 s8, exec_lo
.LBB1_37:                               ; =>This Inner Loop Header: Depth=1
	v_readfirstlane_b32 s4, v20
	v_readfirstlane_b32 s5, v21
	;; [unrolled: 1-line block ×4, first 2 shown]
	s_delay_alu instid0(VALU_DEP_3) | instskip(NEXT) | instid1(VALU_DEP_2)
	v_cmp_eq_u64_e64 s2, s[4:5], v[20:21]
	v_cmp_eq_u64_e64 s3, s[6:7], v[22:23]
	s_delay_alu instid0(VALU_DEP_1) | instskip(NEXT) | instid1(SALU_CYCLE_1)
	s_and_b32 s2, s2, s3
	s_and_saveexec_b32 s2, s2
	buffer_load_b128 v[0:3], v5, s[4:7], 0 offen
                                        ; implicit-def: $vgpr5
	s_xor_b32 exec_lo, exec_lo, s2
	s_cbranch_execnz .LBB1_37
; %bb.38:
	s_mov_b32 exec_lo, s8
	s_waitcnt vmcnt(0)
	v_cndmask_b32_e64 v0, 0, v0, s1
	v_cndmask_b32_e64 v1, 0, v1, s1
	;; [unrolled: 1-line block ×4, first 2 shown]
	v_or_b32_e32 v148, 1, v162
	v_add_f32_e32 v0, v31, v0
	v_add_f32_e32 v1, v147, v1
	s_delay_alu instid0(VALU_DEP_4) | instskip(SKIP_2) | instid1(VALU_DEP_4)
	v_dual_add_f32 v3, v30, v3 :: v_dual_add_f32 v2, v29, v2
	v_add_nc_u32_e32 v5, v8, v4
	v_cmp_gt_i32_e64 s1, v163, v148
	v_dual_max_f32 v28, 0, v0 :: v_dual_max_f32 v29, 0, v1
	s_delay_alu instid0(VALU_DEP_4) | instskip(NEXT) | instid1(VALU_DEP_4)
	v_dual_max_f32 v30, 0, v2 :: v_dual_max_f32 v31, 0, v3
	v_lshlrev_b32_e32 v8, 2, v5
	s_delay_alu instid0(VALU_DEP_4)
	s_and_b32 s2, s1, vcc_lo
	s_mov_b32 s5, exec_lo
.LBB1_39:                               ; =>This Inner Loop Header: Depth=1
	v_readfirstlane_b32 s8, v20
	v_readfirstlane_b32 s9, v21
	;; [unrolled: 1-line block ×4, first 2 shown]
	s_delay_alu instid0(VALU_DEP_3) | instskip(NEXT) | instid1(VALU_DEP_2)
	v_cmp_eq_u64_e64 s3, s[8:9], v[20:21]
	v_cmp_eq_u64_e64 s4, s[10:11], v[22:23]
	s_delay_alu instid0(VALU_DEP_1) | instskip(NEXT) | instid1(SALU_CYCLE_1)
	s_and_b32 s3, s3, s4
	s_and_saveexec_b32 s3, s3
	buffer_load_b128 v[0:3], v8, s[8:11], 0 offen
                                        ; implicit-def: $vgpr8
	s_xor_b32 exec_lo, exec_lo, s3
	s_cbranch_execnz .LBB1_39
; %bb.40:
	s_mov_b32 exec_lo, s5
	s_waitcnt vmcnt(0)
	v_cndmask_b32_e64 v0, 0, v0, s2
	v_cndmask_b32_e64 v1, 0, v1, s2
	;; [unrolled: 1-line block ×4, first 2 shown]
	v_add_lshl_u32 v8, v5, v150, 2
	s_delay_alu instid0(VALU_DEP_4) | instskip(NEXT) | instid1(VALU_DEP_3)
	v_dual_add_f32 v0, v146, v0 :: v_dual_add_f32 v1, v145, v1
	v_dual_add_f32 v2, v144, v2 :: v_dual_add_f32 v3, v135, v3
	s_and_b32 s1, s1, s0
	s_delay_alu instid0(VALU_DEP_2) | instskip(NEXT) | instid1(VALU_DEP_2)
	v_dual_max_f32 v16, 0, v0 :: v_dual_max_f32 v17, 0, v1
	v_dual_max_f32 v18, 0, v2 :: v_dual_max_f32 v19, 0, v3
	s_mov_b32 s8, exec_lo
.LBB1_41:                               ; =>This Inner Loop Header: Depth=1
	v_readfirstlane_b32 s4, v20
	v_readfirstlane_b32 s5, v21
	v_readfirstlane_b32 s6, v22
	v_readfirstlane_b32 s7, v23
	s_delay_alu instid0(VALU_DEP_3) | instskip(NEXT) | instid1(VALU_DEP_2)
	v_cmp_eq_u64_e64 s2, s[4:5], v[20:21]
	v_cmp_eq_u64_e64 s3, s[6:7], v[22:23]
	s_delay_alu instid0(VALU_DEP_1) | instskip(NEXT) | instid1(SALU_CYCLE_1)
	s_and_b32 s2, s2, s3
	s_and_saveexec_b32 s2, s2
	buffer_load_b128 v[0:3], v8, s[4:7], 0 offen
                                        ; implicit-def: $vgpr8
	s_xor_b32 exec_lo, exec_lo, s2
	s_cbranch_execnz .LBB1_41
; %bb.42:
	s_mov_b32 exec_lo, s8
	s_waitcnt vmcnt(0)
	v_cndmask_b32_e64 v0, 0, v0, s1
	v_cndmask_b32_e64 v1, 0, v1, s1
	;; [unrolled: 1-line block ×4, first 2 shown]
	v_or_b32_e32 v135, 2, v162
	s_delay_alu instid0(VALU_DEP_4) | instskip(NEXT) | instid1(VALU_DEP_3)
	v_dual_add_f32 v0, v133, v0 :: v_dual_add_f32 v1, v134, v1
	v_dual_add_f32 v2, v70, v2 :: v_dual_add_nc_u32 v5, v5, v4
	s_delay_alu instid0(VALU_DEP_2) | instskip(NEXT) | instid1(VALU_DEP_4)
	v_dual_add_f32 v3, v71, v3 :: v_dual_max_f32 v68, 0, v0
	v_cmp_gt_i32_e64 s1, v163, v135
	s_delay_alu instid0(VALU_DEP_3) | instskip(NEXT) | instid1(VALU_DEP_3)
	v_dual_max_f32 v69, 0, v1 :: v_dual_max_f32 v70, 0, v2
	v_dual_max_f32 v71, 0, v3 :: v_dual_lshlrev_b32 v8, 2, v5
	s_delay_alu instid0(VALU_DEP_3)
	s_and_b32 s2, s1, vcc_lo
	s_mov_b32 s5, exec_lo
.LBB1_43:                               ; =>This Inner Loop Header: Depth=1
	v_readfirstlane_b32 s8, v20
	v_readfirstlane_b32 s9, v21
	;; [unrolled: 1-line block ×4, first 2 shown]
	s_delay_alu instid0(VALU_DEP_3) | instskip(NEXT) | instid1(VALU_DEP_2)
	v_cmp_eq_u64_e64 s3, s[8:9], v[20:21]
	v_cmp_eq_u64_e64 s4, s[10:11], v[22:23]
	s_delay_alu instid0(VALU_DEP_1) | instskip(NEXT) | instid1(SALU_CYCLE_1)
	s_and_b32 s3, s3, s4
	s_and_saveexec_b32 s3, s3
	buffer_load_b128 v[0:3], v8, s[8:11], 0 offen
                                        ; implicit-def: $vgpr8
	s_xor_b32 exec_lo, exec_lo, s3
	s_cbranch_execnz .LBB1_43
; %bb.44:
	s_mov_b32 exec_lo, s5
	s_waitcnt vmcnt(0)
	v_cndmask_b32_e64 v0, 0, v0, s2
	v_cndmask_b32_e64 v1, 0, v1, s2
	;; [unrolled: 1-line block ×4, first 2 shown]
	v_add_lshl_u32 v8, v5, v150, 2
	s_delay_alu instid0(VALU_DEP_4) | instskip(NEXT) | instid1(VALU_DEP_3)
	v_dual_add_f32 v0, v51, v0 :: v_dual_add_f32 v1, v50, v1
	v_dual_add_f32 v2, v49, v2 :: v_dual_add_f32 v3, v48, v3
	s_and_b32 s1, s1, s0
	s_delay_alu instid0(VALU_DEP_2) | instskip(NEXT) | instid1(VALU_DEP_2)
	v_dual_max_f32 v48, 0, v0 :: v_dual_max_f32 v49, 0, v1
	v_dual_max_f32 v50, 0, v2 :: v_dual_max_f32 v51, 0, v3
	s_mov_b32 s8, exec_lo
.LBB1_45:                               ; =>This Inner Loop Header: Depth=1
	v_readfirstlane_b32 s4, v20
	v_readfirstlane_b32 s5, v21
	;; [unrolled: 1-line block ×4, first 2 shown]
	s_delay_alu instid0(VALU_DEP_3) | instskip(NEXT) | instid1(VALU_DEP_2)
	v_cmp_eq_u64_e64 s2, s[4:5], v[20:21]
	v_cmp_eq_u64_e64 s3, s[6:7], v[22:23]
	s_delay_alu instid0(VALU_DEP_1) | instskip(NEXT) | instid1(SALU_CYCLE_1)
	s_and_b32 s2, s2, s3
	s_and_saveexec_b32 s2, s2
	buffer_load_b128 v[0:3], v8, s[4:7], 0 offen
                                        ; implicit-def: $vgpr8
	s_xor_b32 exec_lo, exec_lo, s2
	s_cbranch_execnz .LBB1_45
; %bb.46:
	s_mov_b32 exec_lo, s8
	s_waitcnt vmcnt(0)
	v_cndmask_b32_e64 v0, 0, v0, s1
	v_cndmask_b32_e64 v1, 0, v1, s1
	;; [unrolled: 1-line block ×4, first 2 shown]
	v_or_b32_e32 v134, 3, v162
	s_delay_alu instid0(VALU_DEP_4) | instskip(NEXT) | instid1(VALU_DEP_3)
	v_dual_add_f32 v0, v66, v0 :: v_dual_add_f32 v1, v67, v1
	v_dual_add_f32 v2, v64, v2 :: v_dual_add_nc_u32 v5, v5, v4
	s_delay_alu instid0(VALU_DEP_2) | instskip(NEXT) | instid1(VALU_DEP_4)
	v_dual_add_f32 v3, v65, v3 :: v_dual_max_f32 v64, 0, v0
	v_cmp_gt_i32_e64 s1, v163, v134
	s_delay_alu instid0(VALU_DEP_3) | instskip(NEXT) | instid1(VALU_DEP_3)
	v_dual_max_f32 v65, 0, v1 :: v_dual_max_f32 v66, 0, v2
	v_dual_max_f32 v67, 0, v3 :: v_dual_lshlrev_b32 v8, 2, v5
	s_delay_alu instid0(VALU_DEP_3)
	s_and_b32 s2, s1, vcc_lo
	s_mov_b32 s5, exec_lo
.LBB1_47:                               ; =>This Inner Loop Header: Depth=1
	v_readfirstlane_b32 s8, v20
	v_readfirstlane_b32 s9, v21
	;; [unrolled: 1-line block ×4, first 2 shown]
	s_delay_alu instid0(VALU_DEP_3) | instskip(NEXT) | instid1(VALU_DEP_2)
	v_cmp_eq_u64_e64 s3, s[8:9], v[20:21]
	v_cmp_eq_u64_e64 s4, s[10:11], v[22:23]
	s_delay_alu instid0(VALU_DEP_1) | instskip(NEXT) | instid1(SALU_CYCLE_1)
	s_and_b32 s3, s3, s4
	s_and_saveexec_b32 s3, s3
	buffer_load_b128 v[0:3], v8, s[8:11], 0 offen
                                        ; implicit-def: $vgpr8
	s_xor_b32 exec_lo, exec_lo, s3
	s_cbranch_execnz .LBB1_47
; %bb.48:
	s_mov_b32 exec_lo, s5
	s_waitcnt vmcnt(0)
	v_cndmask_b32_e64 v0, 0, v0, s2
	v_cndmask_b32_e64 v1, 0, v1, s2
	v_cndmask_b32_e64 v2, 0, v2, s2
	v_cndmask_b32_e64 v3, 0, v3, s2
	v_add_lshl_u32 v8, v5, v150, 2
	s_delay_alu instid0(VALU_DEP_4) | instskip(NEXT) | instid1(VALU_DEP_3)
	v_dual_add_f32 v0, v35, v0 :: v_dual_add_f32 v1, v34, v1
	v_dual_add_f32 v2, v33, v2 :: v_dual_add_f32 v3, v32, v3
	s_and_b32 s1, s1, s0
	s_delay_alu instid0(VALU_DEP_2) | instskip(NEXT) | instid1(VALU_DEP_2)
	v_dual_max_f32 v32, 0, v0 :: v_dual_max_f32 v33, 0, v1
	v_dual_max_f32 v34, 0, v2 :: v_dual_max_f32 v35, 0, v3
	s_mov_b32 s8, exec_lo
.LBB1_49:                               ; =>This Inner Loop Header: Depth=1
	v_readfirstlane_b32 s4, v20
	v_readfirstlane_b32 s5, v21
	;; [unrolled: 1-line block ×4, first 2 shown]
	s_delay_alu instid0(VALU_DEP_3) | instskip(NEXT) | instid1(VALU_DEP_2)
	v_cmp_eq_u64_e64 s2, s[4:5], v[20:21]
	v_cmp_eq_u64_e64 s3, s[6:7], v[22:23]
	s_delay_alu instid0(VALU_DEP_1) | instskip(NEXT) | instid1(SALU_CYCLE_1)
	s_and_b32 s2, s2, s3
	s_and_saveexec_b32 s2, s2
	buffer_load_b128 v[0:3], v8, s[4:7], 0 offen
                                        ; implicit-def: $vgpr8
	s_xor_b32 exec_lo, exec_lo, s2
	s_cbranch_execnz .LBB1_49
; %bb.50:
	s_mov_b32 exec_lo, s8
	s_waitcnt vmcnt(0)
	v_cndmask_b32_e64 v0, 0, v0, s1
	v_cndmask_b32_e64 v1, 0, v1, s1
	;; [unrolled: 1-line block ×4, first 2 shown]
	v_mad_u64_u32 v[12:13], null, v4, 61, v[5:6]
	s_delay_alu instid0(VALU_DEP_4) | instskip(SKIP_1) | instid1(VALU_DEP_4)
	v_dual_add_f32 v0, v83, v0 :: v_dual_add_f32 v1, v82, v1
	v_add_nc_u32_e32 v133, 64, v162
	v_dual_add_f32 v2, v80, v2 :: v_dual_add_f32 v3, v81, v3
	s_delay_alu instid0(VALU_DEP_3) | instskip(NEXT) | instid1(VALU_DEP_3)
	v_dual_max_f32 v80, 0, v0 :: v_dual_max_f32 v81, 0, v1
	v_cmp_gt_i32_e64 s1, v163, v133
	s_delay_alu instid0(VALU_DEP_3) | instskip(SKIP_2) | instid1(VALU_DEP_3)
	v_dual_max_f32 v82, 0, v2 :: v_dual_max_f32 v83, 0, v3
	v_lshlrev_b32_e32 v5, 2, v12
	s_mov_b32 s5, exec_lo
	s_and_b32 s2, s1, vcc_lo
.LBB1_51:                               ; =>This Inner Loop Header: Depth=1
	v_readfirstlane_b32 s8, v20
	v_readfirstlane_b32 s9, v21
	;; [unrolled: 1-line block ×4, first 2 shown]
	s_delay_alu instid0(VALU_DEP_3) | instskip(NEXT) | instid1(VALU_DEP_2)
	v_cmp_eq_u64_e64 s3, s[8:9], v[20:21]
	v_cmp_eq_u64_e64 s4, s[10:11], v[22:23]
	s_delay_alu instid0(VALU_DEP_1) | instskip(NEXT) | instid1(SALU_CYCLE_1)
	s_and_b32 s3, s3, s4
	s_and_saveexec_b32 s3, s3
	buffer_load_b128 v[0:3], v5, s[8:11], 0 offen
                                        ; implicit-def: $vgpr5
	s_xor_b32 exec_lo, exec_lo, s3
	s_cbranch_execnz .LBB1_51
; %bb.52:
	s_mov_b32 exec_lo, s5
	s_waitcnt vmcnt(0)
	v_cndmask_b32_e64 v0, 0, v0, s2
	v_cndmask_b32_e64 v1, 0, v1, s2
	v_cndmask_b32_e64 v2, 0, v2, s2
	v_cndmask_b32_e64 v3, 0, v3, s2
	v_add_lshl_u32 v5, v12, v150, 2
	s_delay_alu instid0(VALU_DEP_4) | instskip(NEXT) | instid1(VALU_DEP_3)
	v_dual_add_f32 v0, v129, v0 :: v_dual_add_f32 v1, v132, v1
	v_dual_add_f32 v2, v131, v2 :: v_dual_add_f32 v3, v130, v3
	s_and_b32 s1, s1, s0
	s_delay_alu instid0(VALU_DEP_2) | instskip(NEXT) | instid1(VALU_DEP_2)
	v_dual_max_f32 v0, 0, v0 :: v_dual_max_f32 v1, 0, v1
	v_dual_max_f32 v2, 0, v2 :: v_dual_max_f32 v3, 0, v3
	s_mov_b32 s8, exec_lo
.LBB1_53:                               ; =>This Inner Loop Header: Depth=1
	v_readfirstlane_b32 s4, v20
	v_readfirstlane_b32 s5, v21
	;; [unrolled: 1-line block ×4, first 2 shown]
	s_delay_alu instid0(VALU_DEP_3) | instskip(NEXT) | instid1(VALU_DEP_2)
	v_cmp_eq_u64_e64 s2, s[4:5], v[20:21]
	v_cmp_eq_u64_e64 s3, s[6:7], v[22:23]
	s_delay_alu instid0(VALU_DEP_1) | instskip(NEXT) | instid1(SALU_CYCLE_1)
	s_and_b32 s2, s2, s3
	s_and_saveexec_b32 s2, s2
	buffer_load_b128 v[8:11], v5, s[4:7], 0 offen
                                        ; implicit-def: $vgpr5
	s_xor_b32 exec_lo, exec_lo, s2
	s_cbranch_execnz .LBB1_53
; %bb.54:
	s_mov_b32 exec_lo, s8
	s_waitcnt vmcnt(0)
	v_cndmask_b32_e64 v5, 0, v8, s1
	v_cndmask_b32_e64 v8, 0, v9, s1
	;; [unrolled: 1-line block ×4, first 2 shown]
	v_add_nc_u32_e32 v129, 0x41, v162
	s_delay_alu instid0(VALU_DEP_4) | instskip(SKIP_1) | instid1(VALU_DEP_4)
	v_dual_add_f32 v11, v38, v5 :: v_dual_add_f32 v8, v39, v8
	v_add_nc_u32_e32 v5, v12, v4
	v_dual_add_f32 v12, v36, v10 :: v_dual_add_f32 v9, v37, v9
	s_delay_alu instid0(VALU_DEP_4) | instskip(NEXT) | instid1(VALU_DEP_4)
	v_cmp_gt_i32_e64 s1, v163, v129
	v_dual_max_f32 v10, 0, v11 :: v_dual_max_f32 v11, 0, v8
	s_delay_alu instid0(VALU_DEP_4) | instskip(NEXT) | instid1(VALU_DEP_4)
	v_lshlrev_b32_e32 v8, 2, v5
	v_dual_max_f32 v12, 0, v12 :: v_dual_max_f32 v13, 0, v9
	s_delay_alu instid0(VALU_DEP_4)
	s_and_b32 s2, s1, vcc_lo
	s_mov_b32 s5, exec_lo
.LBB1_55:                               ; =>This Inner Loop Header: Depth=1
	v_readfirstlane_b32 s8, v20
	v_readfirstlane_b32 s9, v21
	;; [unrolled: 1-line block ×4, first 2 shown]
	s_delay_alu instid0(VALU_DEP_3) | instskip(NEXT) | instid1(VALU_DEP_2)
	v_cmp_eq_u64_e64 s3, s[8:9], v[20:21]
	v_cmp_eq_u64_e64 s4, s[10:11], v[22:23]
	s_delay_alu instid0(VALU_DEP_1) | instskip(NEXT) | instid1(SALU_CYCLE_1)
	s_and_b32 s3, s3, s4
	s_and_saveexec_b32 s3, s3
	buffer_load_b128 v[36:39], v8, s[8:11], 0 offen
                                        ; implicit-def: $vgpr8
	s_xor_b32 exec_lo, exec_lo, s3
	s_cbranch_execnz .LBB1_55
; %bb.56:
	s_mov_b32 exec_lo, s5
	s_waitcnt vmcnt(0)
	v_cndmask_b32_e64 v8, 0, v36, s2
	v_cndmask_b32_e64 v9, 0, v37, s2
	;; [unrolled: 1-line block ×4, first 2 shown]
	s_and_b32 s1, s1, s0
	s_delay_alu instid0(VALU_DEP_3) | instskip(NEXT) | instid1(VALU_DEP_2)
	v_dual_add_f32 v8, v55, v8 :: v_dual_add_f32 v9, v54, v9
	v_dual_add_f32 v38, v53, v36 :: v_dual_add_f32 v39, v52, v37
	s_mov_b32 s8, exec_lo
	s_delay_alu instid0(VALU_DEP_2) | instskip(NEXT) | instid1(VALU_DEP_2)
	v_dual_max_f32 v36, 0, v8 :: v_dual_max_f32 v37, 0, v9
	v_dual_max_f32 v38, 0, v38 :: v_dual_max_f32 v39, 0, v39
	v_add_lshl_u32 v8, v5, v150, 2
.LBB1_57:                               ; =>This Inner Loop Header: Depth=1
	v_readfirstlane_b32 s4, v20
	v_readfirstlane_b32 s5, v21
	;; [unrolled: 1-line block ×4, first 2 shown]
	s_delay_alu instid0(VALU_DEP_3) | instskip(NEXT) | instid1(VALU_DEP_2)
	v_cmp_eq_u64_e64 s2, s[4:5], v[20:21]
	v_cmp_eq_u64_e64 s3, s[6:7], v[22:23]
	s_delay_alu instid0(VALU_DEP_1) | instskip(NEXT) | instid1(SALU_CYCLE_1)
	s_and_b32 s2, s2, s3
	s_and_saveexec_b32 s2, s2
	buffer_load_b128 v[52:55], v8, s[4:7], 0 offen
                                        ; implicit-def: $vgpr8
	s_xor_b32 exec_lo, exec_lo, s2
	s_cbranch_execnz .LBB1_57
; %bb.58:
	s_mov_b32 exec_lo, s8
	s_waitcnt vmcnt(0)
	v_cndmask_b32_e64 v8, 0, v52, s1
	v_cndmask_b32_e64 v9, 0, v53, s1
	;; [unrolled: 1-line block ×4, first 2 shown]
	v_add_nc_u32_e32 v130, 0x42, v162
	v_add_nc_u32_e32 v5, v5, v4
	v_dual_add_f32 v9, v87, v9 :: v_dual_add_f32 v8, v86, v8
	s_delay_alu instid0(VALU_DEP_4) | instskip(NEXT) | instid1(VALU_DEP_4)
	v_dual_add_f32 v54, v84, v53 :: v_dual_add_f32 v55, v85, v52
	v_cmp_gt_i32_e64 s1, v163, v130
	s_delay_alu instid0(VALU_DEP_3) | instskip(SKIP_1) | instid1(VALU_DEP_3)
	v_max_f32_e32 v53, 0, v9
	s_mov_b32 s5, exec_lo
	v_max_f32_e32 v54, 0, v54
	v_dual_max_f32 v52, 0, v8 :: v_dual_max_f32 v55, 0, v55
	v_lshlrev_b32_e32 v8, 2, v5
	s_and_b32 s2, s1, vcc_lo
.LBB1_59:                               ; =>This Inner Loop Header: Depth=1
	v_readfirstlane_b32 s8, v20
	v_readfirstlane_b32 s9, v21
	;; [unrolled: 1-line block ×4, first 2 shown]
	s_delay_alu instid0(VALU_DEP_3) | instskip(NEXT) | instid1(VALU_DEP_2)
	v_cmp_eq_u64_e64 s3, s[8:9], v[20:21]
	v_cmp_eq_u64_e64 s4, s[10:11], v[22:23]
	s_delay_alu instid0(VALU_DEP_1) | instskip(NEXT) | instid1(SALU_CYCLE_1)
	s_and_b32 s3, s3, s4
	s_and_saveexec_b32 s3, s3
	buffer_load_b128 v[84:87], v8, s[8:11], 0 offen
                                        ; implicit-def: $vgpr8
	s_xor_b32 exec_lo, exec_lo, s3
	s_cbranch_execnz .LBB1_59
; %bb.60:
	s_mov_b32 exec_lo, s5
	s_waitcnt vmcnt(0)
	v_cndmask_b32_e64 v8, 0, v84, s2
	v_cndmask_b32_e64 v9, 0, v85, s2
	;; [unrolled: 1-line block ×4, first 2 shown]
	s_and_b32 s1, s1, s0
	s_delay_alu instid0(VALU_DEP_3) | instskip(NEXT) | instid1(VALU_DEP_2)
	v_dual_add_f32 v8, v99, v8 :: v_dual_add_f32 v9, v98, v9
	v_dual_add_f32 v86, v97, v84 :: v_dual_add_f32 v87, v96, v85
	s_mov_b32 s8, exec_lo
	s_delay_alu instid0(VALU_DEP_2) | instskip(NEXT) | instid1(VALU_DEP_2)
	v_dual_max_f32 v84, 0, v8 :: v_dual_max_f32 v85, 0, v9
	v_dual_max_f32 v86, 0, v86 :: v_dual_max_f32 v87, 0, v87
	v_add_lshl_u32 v8, v5, v150, 2
.LBB1_61:                               ; =>This Inner Loop Header: Depth=1
	v_readfirstlane_b32 s4, v20
	v_readfirstlane_b32 s5, v21
	;; [unrolled: 1-line block ×4, first 2 shown]
	s_delay_alu instid0(VALU_DEP_3) | instskip(NEXT) | instid1(VALU_DEP_2)
	v_cmp_eq_u64_e64 s2, s[4:5], v[20:21]
	v_cmp_eq_u64_e64 s3, s[6:7], v[22:23]
	s_delay_alu instid0(VALU_DEP_1) | instskip(NEXT) | instid1(SALU_CYCLE_1)
	s_and_b32 s2, s2, s3
	s_and_saveexec_b32 s2, s2
	buffer_load_b128 v[96:99], v8, s[4:7], 0 offen
                                        ; implicit-def: $vgpr8
	s_xor_b32 exec_lo, exec_lo, s2
	s_cbranch_execnz .LBB1_61
; %bb.62:
	s_mov_b32 exec_lo, s8
	s_waitcnt vmcnt(0)
	v_cndmask_b32_e64 v8, 0, v96, s1
	v_cndmask_b32_e64 v9, 0, v97, s1
	v_cndmask_b32_e64 v96, 0, v99, s1
	v_cndmask_b32_e64 v97, 0, v98, s1
	s_delay_alu instid0(VALU_DEP_4) | instskip(NEXT) | instid1(VALU_DEP_4)
	v_dual_add_f32 v8, v102, v8 :: v_dual_add_nc_u32 v131, 0x43, v162
	v_dual_add_f32 v9, v103, v9 :: v_dual_add_nc_u32 v4, v5, v4
	s_delay_alu instid0(VALU_DEP_3) | instskip(SKIP_1) | instid1(VALU_DEP_4)
	v_add_f32_e32 v5, v100, v97
	v_add_f32_e32 v99, v101, v96
	v_cmp_gt_i32_e64 s1, v163, v131
	s_delay_alu instid0(VALU_DEP_4) | instskip(NEXT) | instid1(VALU_DEP_3)
	v_dual_max_f32 v96, 0, v8 :: v_dual_max_f32 v97, 0, v9
	v_dual_max_f32 v98, 0, v5 :: v_dual_max_f32 v99, 0, v99
	v_lshlrev_b32_e32 v5, 2, v4
	s_delay_alu instid0(VALU_DEP_4)
	s_and_b32 vcc_lo, s1, vcc_lo
	s_mov_b32 s8, exec_lo
.LBB1_63:                               ; =>This Inner Loop Header: Depth=1
	v_readfirstlane_b32 s4, v20
	v_readfirstlane_b32 s5, v21
	;; [unrolled: 1-line block ×4, first 2 shown]
	s_delay_alu instid0(VALU_DEP_3) | instskip(NEXT) | instid1(VALU_DEP_2)
	v_cmp_eq_u64_e64 s2, s[4:5], v[20:21]
	v_cmp_eq_u64_e64 s3, s[6:7], v[22:23]
	s_delay_alu instid0(VALU_DEP_1) | instskip(NEXT) | instid1(SALU_CYCLE_1)
	s_and_b32 s2, s2, s3
	s_and_saveexec_b32 s2, s2
	buffer_load_b128 v[100:103], v5, s[4:7], 0 offen
                                        ; implicit-def: $vgpr5
	s_xor_b32 exec_lo, exec_lo, s2
	s_cbranch_execnz .LBB1_63
; %bb.64:
	s_mov_b32 exec_lo, s8
	s_waitcnt vmcnt(0)
	v_dual_cndmask_b32 v5, 0, v100 :: v_dual_cndmask_b32 v8, 0, v101
	v_dual_cndmask_b32 v9, 0, v102 :: v_dual_cndmask_b32 v100, 0, v103
	v_add_lshl_u32 v4, v4, v150, 2
	s_delay_alu instid0(VALU_DEP_3) | instskip(NEXT) | instid1(VALU_DEP_3)
	v_dual_add_f32 v5, v115, v5 :: v_dual_add_f32 v8, v114, v8
	v_add_f32_e32 v9, v112, v9
	s_delay_alu instid0(VALU_DEP_4) | instskip(SKIP_1) | instid1(VALU_DEP_3)
	v_add_f32_e32 v103, v113, v100
	s_and_b32 vcc_lo, s1, s0
	v_dual_max_f32 v100, 0, v5 :: v_dual_max_f32 v101, 0, v8
	s_delay_alu instid0(VALU_DEP_2)
	v_dual_max_f32 v102, 0, v9 :: v_dual_max_f32 v103, 0, v103
	s_mov_b32 s2, exec_lo
.LBB1_65:                               ; =>This Inner Loop Header: Depth=1
	v_readfirstlane_b32 s4, v20
	v_readfirstlane_b32 s5, v21
	v_readfirstlane_b32 s6, v22
	v_readfirstlane_b32 s7, v23
	s_delay_alu instid0(VALU_DEP_3) | instskip(NEXT) | instid1(VALU_DEP_2)
	v_cmp_eq_u64_e64 s0, s[4:5], v[20:21]
	v_cmp_eq_u64_e64 s1, s[6:7], v[22:23]
	s_delay_alu instid0(VALU_DEP_1) | instskip(NEXT) | instid1(SALU_CYCLE_1)
	s_and_b32 s0, s0, s1
	s_and_saveexec_b32 s0, s0
	buffer_load_b128 v[112:115], v4, s[4:7], 0 offen
                                        ; implicit-def: $vgpr20_vgpr21_vgpr22_vgpr23
                                        ; implicit-def: $vgpr4
	s_xor_b32 exec_lo, exec_lo, s0
	s_cbranch_execnz .LBB1_65
; %bb.66:
	s_mov_b32 exec_lo, s2
	s_clause 0x2
	flat_load_b64 v[8:9], v[14:15] offset:8
	flat_load_b32 v4, v[14:15] offset:32
	flat_load_b32 v5, v[14:15] offset:20
	s_waitcnt vmcnt(3)
	v_dual_cndmask_b32 v20, 0, v112 :: v_dual_cndmask_b32 v21, 0, v113
	v_cndmask_b32_e32 v22, 0, v114, vcc_lo
	s_mov_b32 s1, exec_lo
	s_delay_alu instid0(VALU_DEP_2) | instskip(NEXT) | instid1(VALU_DEP_2)
	v_dual_cndmask_b32 v23, 0, v115 :: v_dual_add_f32 v20, v119, v20
	v_dual_add_f32 v21, v117, v21 :: v_dual_add_f32 v22, v118, v22
	s_delay_alu instid0(VALU_DEP_2) | instskip(NEXT) | instid1(VALU_DEP_2)
	v_dual_add_f32 v23, v128, v23 :: v_dual_max_f32 v20, 0, v20
	v_dual_max_f32 v21, 0, v21 :: v_dual_max_f32 v22, 0, v22
	s_delay_alu instid0(VALU_DEP_2)
	v_max_f32_e32 v23, 0, v23
	s_waitcnt vmcnt(2) lgkmcnt(2)
	v_mul_lo_u32 v8, v8, v162
	s_waitcnt vmcnt(1) lgkmcnt(1)
	v_cmp_gt_i32_e32 vcc_lo, v4, v160
	s_waitcnt vmcnt(0) lgkmcnt(0)
	v_cmp_gt_i32_e64 s0, v5, v162
	s_delay_alu instid0(VALU_DEP_1) | instskip(NEXT) | instid1(VALU_DEP_3)
	s_and_b32 s0, s0, vcc_lo
	v_mad_u64_u32 v[4:5], null, v9, v160, v[8:9]
	v_cndmask_b32_e64 v5, 0x80000000, 0, s0
	v_dual_mov_b32 v9, 0x31004000 :: v_dual_lshlrev_b32 v8, 2, v116
	s_delay_alu instid0(VALU_DEP_2)
	v_lshl_add_u32 v5, v4, 2, v5
.LBB1_67:                               ; =>This Inner Loop Header: Depth=1
	v_readfirstlane_b32 s4, v6
	v_readfirstlane_b32 s5, v7
	s_delay_alu instid0(VALU_DEP_4) | instskip(SKIP_1) | instid1(VALU_DEP_3)
	v_readfirstlane_b32 s6, v8
	v_readfirstlane_b32 s7, v9
	v_cmp_eq_u64_e32 vcc_lo, s[4:5], v[6:7]
	s_delay_alu instid0(VALU_DEP_2) | instskip(NEXT) | instid1(VALU_DEP_1)
	v_cmp_eq_u64_e64 s0, s[6:7], v[8:9]
	s_and_b32 s0, vcc_lo, s0
	s_delay_alu instid0(SALU_CYCLE_1)
	s_and_saveexec_b32 s0, s0
	buffer_store_b128 v[24:27], v5, s[4:7], 0 offen
                                        ; implicit-def: $vgpr24_vgpr25_vgpr26_vgpr27
                                        ; implicit-def: $vgpr5
	s_xor_b32 exec_lo, exec_lo, s0
	s_cbranch_execnz .LBB1_67
; %bb.68:
	s_mov_b32 exec_lo, s1
	s_clause 0x2
	flat_load_b32 v5, v[14:15] offset:32
	flat_load_b32 v24, v[14:15] offset:20
	;; [unrolled: 1-line block ×3, first 2 shown]
	s_mov_b32 s1, exec_lo
	s_waitcnt vmcnt(2) lgkmcnt(2)
	v_cmp_gt_i32_e32 vcc_lo, v5, v161
	s_waitcnt vmcnt(1) lgkmcnt(1)
	v_cmp_gt_i32_e64 s0, v24, v162
	s_waitcnt vmcnt(0) lgkmcnt(0)
	v_lshl_add_u32 v4, v25, 6, v4
	s_delay_alu instid0(VALU_DEP_2) | instskip(NEXT) | instid1(SALU_CYCLE_1)
	s_and_b32 s0, s0, vcc_lo
	v_cndmask_b32_e64 v5, 0x80000000, 0, s0
	s_delay_alu instid0(VALU_DEP_1)
	v_lshl_add_u32 v5, v4, 2, v5
.LBB1_69:                               ; =>This Inner Loop Header: Depth=1
	v_readfirstlane_b32 s4, v6
	v_readfirstlane_b32 s5, v7
	;; [unrolled: 1-line block ×4, first 2 shown]
	s_delay_alu instid0(VALU_DEP_3) | instskip(NEXT) | instid1(VALU_DEP_2)
	v_cmp_eq_u64_e32 vcc_lo, s[4:5], v[6:7]
	v_cmp_eq_u64_e64 s0, s[6:7], v[8:9]
	s_delay_alu instid0(VALU_DEP_1) | instskip(NEXT) | instid1(SALU_CYCLE_1)
	s_and_b32 s0, vcc_lo, s0
	s_and_saveexec_b32 s0, s0
	buffer_store_b128 v[28:31], v5, s[4:7], 0 offen
                                        ; implicit-def: $vgpr28_vgpr29_vgpr30_vgpr31
                                        ; implicit-def: $vgpr5
	s_xor_b32 exec_lo, exec_lo, s0
	s_cbranch_execnz .LBB1_69
; %bb.70:
	s_mov_b32 exec_lo, s1
	s_clause 0x2
	flat_load_b32 v5, v[14:15] offset:32
	flat_load_b32 v24, v[14:15] offset:20
	;; [unrolled: 1-line block ×3, first 2 shown]
	s_mov_b32 s1, exec_lo
	s_waitcnt vmcnt(2) lgkmcnt(2)
	v_cmp_gt_i32_e32 vcc_lo, v5, v161
	s_waitcnt vmcnt(1) lgkmcnt(1)
	v_cmp_gt_i32_e64 s0, v24, v148
	s_waitcnt vmcnt(0) lgkmcnt(0)
	v_add_nc_u32_e32 v4, v25, v4
	s_delay_alu instid0(VALU_DEP_2) | instskip(NEXT) | instid1(SALU_CYCLE_1)
	s_and_b32 s0, s0, vcc_lo
	v_cndmask_b32_e64 v5, 0x80000000, 0, s0
	s_delay_alu instid0(VALU_DEP_1)
	v_lshl_add_u32 v5, v4, 2, v5
.LBB1_71:                               ; =>This Inner Loop Header: Depth=1
	v_readfirstlane_b32 s4, v6
	v_readfirstlane_b32 s5, v7
	;; [unrolled: 1-line block ×4, first 2 shown]
	s_delay_alu instid0(VALU_DEP_3) | instskip(NEXT) | instid1(VALU_DEP_2)
	v_cmp_eq_u64_e32 vcc_lo, s[4:5], v[6:7]
	v_cmp_eq_u64_e64 s0, s[6:7], v[8:9]
	s_delay_alu instid0(VALU_DEP_1) | instskip(NEXT) | instid1(SALU_CYCLE_1)
	s_and_b32 s0, vcc_lo, s0
	s_and_saveexec_b32 s0, s0
	buffer_store_b128 v[68:71], v5, s[4:7], 0 offen
                                        ; implicit-def: $vgpr68_vgpr69_vgpr70_vgpr71
                                        ; implicit-def: $vgpr5
	s_xor_b32 exec_lo, exec_lo, s0
	s_cbranch_execnz .LBB1_71
; %bb.72:
	s_mov_b32 exec_lo, s1
	s_clause 0x2
	flat_load_b32 v5, v[14:15] offset:12
	flat_load_b32 v24, v[14:15] offset:32
	;; [unrolled: 1-line block ×3, first 2 shown]
	s_mov_b32 s1, exec_lo
	s_waitcnt vmcnt(2) lgkmcnt(2)
	v_lshlrev_b32_e32 v5, 6, v5
	s_waitcnt vmcnt(1) lgkmcnt(1)
	v_cmp_gt_i32_e32 vcc_lo, v24, v160
	s_waitcnt vmcnt(0) lgkmcnt(0)
	v_cmp_gt_i32_e64 s0, v25, v148
	v_sub_nc_u32_e32 v4, v4, v5
	s_delay_alu instid0(VALU_DEP_2) | instskip(NEXT) | instid1(SALU_CYCLE_1)
	s_and_b32 s0, s0, vcc_lo
	v_cndmask_b32_e64 v5, 0x80000000, 0, s0
	s_delay_alu instid0(VALU_DEP_1)
	v_lshl_add_u32 v5, v4, 2, v5
.LBB1_73:                               ; =>This Inner Loop Header: Depth=1
	v_readfirstlane_b32 s4, v6
	v_readfirstlane_b32 s5, v7
	;; [unrolled: 1-line block ×4, first 2 shown]
	s_delay_alu instid0(VALU_DEP_3) | instskip(NEXT) | instid1(VALU_DEP_2)
	v_cmp_eq_u64_e32 vcc_lo, s[4:5], v[6:7]
	v_cmp_eq_u64_e64 s0, s[6:7], v[8:9]
	s_delay_alu instid0(VALU_DEP_1) | instskip(NEXT) | instid1(SALU_CYCLE_1)
	s_and_b32 s0, vcc_lo, s0
	s_and_saveexec_b32 s0, s0
	buffer_store_b128 v[16:19], v5, s[4:7], 0 offen
                                        ; implicit-def: $vgpr16_vgpr17_vgpr18_vgpr19
                                        ; implicit-def: $vgpr5
	s_xor_b32 exec_lo, exec_lo, s0
	s_cbranch_execnz .LBB1_73
; %bb.74:
	s_mov_b32 exec_lo, s1
	s_clause 0x2
	flat_load_b32 v5, v[14:15] offset:32
	flat_load_b32 v16, v[14:15] offset:20
	flat_load_b32 v17, v[14:15] offset:8
	s_mov_b32 s1, exec_lo
	s_waitcnt vmcnt(2) lgkmcnt(2)
	v_cmp_gt_i32_e32 vcc_lo, v5, v160
	s_waitcnt vmcnt(1) lgkmcnt(1)
	v_cmp_gt_i32_e64 s0, v16, v135
	s_waitcnt vmcnt(0) lgkmcnt(0)
	v_add_nc_u32_e32 v4, v17, v4
	s_delay_alu instid0(VALU_DEP_2) | instskip(NEXT) | instid1(SALU_CYCLE_1)
	s_and_b32 s0, s0, vcc_lo
	v_cndmask_b32_e64 v5, 0x80000000, 0, s0
	s_delay_alu instid0(VALU_DEP_1)
	v_lshl_add_u32 v5, v4, 2, v5
.LBB1_75:                               ; =>This Inner Loop Header: Depth=1
	v_readfirstlane_b32 s4, v6
	v_readfirstlane_b32 s5, v7
	;; [unrolled: 1-line block ×4, first 2 shown]
	s_delay_alu instid0(VALU_DEP_3) | instskip(NEXT) | instid1(VALU_DEP_2)
	v_cmp_eq_u64_e32 vcc_lo, s[4:5], v[6:7]
	v_cmp_eq_u64_e64 s0, s[6:7], v[8:9]
	s_delay_alu instid0(VALU_DEP_1) | instskip(NEXT) | instid1(SALU_CYCLE_1)
	s_and_b32 s0, vcc_lo, s0
	s_and_saveexec_b32 s0, s0
	buffer_store_b128 v[48:51], v5, s[4:7], 0 offen
                                        ; implicit-def: $vgpr48_vgpr49_vgpr50_vgpr51
                                        ; implicit-def: $vgpr5
	s_xor_b32 exec_lo, exec_lo, s0
	s_cbranch_execnz .LBB1_75
; %bb.76:
	s_mov_b32 exec_lo, s1
	s_clause 0x2
	flat_load_b32 v5, v[14:15] offset:32
	flat_load_b32 v16, v[14:15] offset:20
	;; [unrolled: 1-line block ×3, first 2 shown]
	s_mov_b32 s1, exec_lo
	s_waitcnt vmcnt(2) lgkmcnt(2)
	v_cmp_gt_i32_e32 vcc_lo, v5, v161
	s_waitcnt vmcnt(1) lgkmcnt(1)
	v_cmp_gt_i32_e64 s0, v16, v135
	s_waitcnt vmcnt(0) lgkmcnt(0)
	v_lshl_add_u32 v4, v17, 6, v4
	s_delay_alu instid0(VALU_DEP_2) | instskip(NEXT) | instid1(SALU_CYCLE_1)
	s_and_b32 s0, s0, vcc_lo
	v_cndmask_b32_e64 v5, 0x80000000, 0, s0
	s_delay_alu instid0(VALU_DEP_1)
	v_lshl_add_u32 v5, v4, 2, v5
.LBB1_77:                               ; =>This Inner Loop Header: Depth=1
	v_readfirstlane_b32 s4, v6
	v_readfirstlane_b32 s5, v7
	;; [unrolled: 1-line block ×4, first 2 shown]
	s_delay_alu instid0(VALU_DEP_3) | instskip(NEXT) | instid1(VALU_DEP_2)
	v_cmp_eq_u64_e32 vcc_lo, s[4:5], v[6:7]
	v_cmp_eq_u64_e64 s0, s[6:7], v[8:9]
	s_delay_alu instid0(VALU_DEP_1) | instskip(NEXT) | instid1(SALU_CYCLE_1)
	s_and_b32 s0, vcc_lo, s0
	s_and_saveexec_b32 s0, s0
	buffer_store_b128 v[64:67], v5, s[4:7], 0 offen
                                        ; implicit-def: $vgpr64_vgpr65_vgpr66_vgpr67
                                        ; implicit-def: $vgpr5
	s_xor_b32 exec_lo, exec_lo, s0
	s_cbranch_execnz .LBB1_77
; %bb.78:
	s_mov_b32 exec_lo, s1
	s_clause 0x2
	flat_load_b32 v5, v[14:15] offset:32
	flat_load_b32 v16, v[14:15] offset:20
	flat_load_b32 v17, v[14:15] offset:8
	s_mov_b32 s1, exec_lo
	s_waitcnt vmcnt(2) lgkmcnt(2)
	v_cmp_gt_i32_e32 vcc_lo, v5, v161
	s_waitcnt vmcnt(1) lgkmcnt(1)
	v_cmp_gt_i32_e64 s0, v16, v134
	s_waitcnt vmcnt(0) lgkmcnt(0)
	v_add_nc_u32_e32 v4, v17, v4
	s_delay_alu instid0(VALU_DEP_2) | instskip(NEXT) | instid1(SALU_CYCLE_1)
	s_and_b32 s0, s0, vcc_lo
	v_cndmask_b32_e64 v5, 0x80000000, 0, s0
	s_delay_alu instid0(VALU_DEP_1)
	v_lshl_add_u32 v5, v4, 2, v5
.LBB1_79:                               ; =>This Inner Loop Header: Depth=1
	v_readfirstlane_b32 s4, v6
	v_readfirstlane_b32 s5, v7
	;; [unrolled: 1-line block ×4, first 2 shown]
	s_delay_alu instid0(VALU_DEP_3) | instskip(NEXT) | instid1(VALU_DEP_2)
	v_cmp_eq_u64_e32 vcc_lo, s[4:5], v[6:7]
	v_cmp_eq_u64_e64 s0, s[6:7], v[8:9]
	s_delay_alu instid0(VALU_DEP_1) | instskip(NEXT) | instid1(SALU_CYCLE_1)
	s_and_b32 s0, vcc_lo, s0
	s_and_saveexec_b32 s0, s0
	buffer_store_b128 v[80:83], v5, s[4:7], 0 offen
                                        ; implicit-def: $vgpr80_vgpr81_vgpr82_vgpr83
                                        ; implicit-def: $vgpr5
	s_xor_b32 exec_lo, exec_lo, s0
	s_cbranch_execnz .LBB1_79
; %bb.80:
	s_mov_b32 exec_lo, s1
	s_clause 0x2
	flat_load_b32 v5, v[14:15] offset:12
	flat_load_b32 v16, v[14:15] offset:32
	;; [unrolled: 1-line block ×3, first 2 shown]
	s_mov_b32 s1, exec_lo
	s_waitcnt vmcnt(2) lgkmcnt(2)
	v_lshlrev_b32_e32 v5, 6, v5
	s_waitcnt vmcnt(1) lgkmcnt(1)
	v_cmp_gt_i32_e32 vcc_lo, v16, v160
	s_waitcnt vmcnt(0) lgkmcnt(0)
	v_cmp_gt_i32_e64 s0, v17, v134
	v_sub_nc_u32_e32 v4, v4, v5
	s_delay_alu instid0(VALU_DEP_2) | instskip(NEXT) | instid1(SALU_CYCLE_1)
	s_and_b32 s0, s0, vcc_lo
	v_cndmask_b32_e64 v16, 0x80000000, 0, s0
	s_delay_alu instid0(VALU_DEP_2) | instskip(NEXT) | instid1(VALU_DEP_1)
	v_lshlrev_b32_e32 v5, 2, v4
	v_add_nc_u32_e32 v16, v16, v5
.LBB1_81:                               ; =>This Inner Loop Header: Depth=1
	v_readfirstlane_b32 s4, v6
	v_readfirstlane_b32 s5, v7
	;; [unrolled: 1-line block ×4, first 2 shown]
	s_delay_alu instid0(VALU_DEP_3) | instskip(NEXT) | instid1(VALU_DEP_2)
	v_cmp_eq_u64_e32 vcc_lo, s[4:5], v[6:7]
	v_cmp_eq_u64_e64 s0, s[6:7], v[8:9]
	s_delay_alu instid0(VALU_DEP_1) | instskip(NEXT) | instid1(SALU_CYCLE_1)
	s_and_b32 s0, vcc_lo, s0
	s_and_saveexec_b32 s0, s0
	buffer_store_b128 v[32:35], v16, s[4:7], 0 offen
                                        ; implicit-def: $vgpr32_vgpr33_vgpr34_vgpr35
                                        ; implicit-def: $vgpr16
	s_xor_b32 exec_lo, exec_lo, s0
	s_cbranch_execnz .LBB1_81
; %bb.82:
	s_mov_b32 exec_lo, s1
	s_clause 0x2
	flat_load_b32 v17, v[14:15] offset:32
	flat_load_b32 v18, v[14:15] offset:20
	;; [unrolled: 1-line block ×3, first 2 shown]
	s_mov_b32 s1, exec_lo
	s_waitcnt vmcnt(2) lgkmcnt(2)
	v_cmp_gt_i32_e32 vcc_lo, v17, v160
	s_waitcnt vmcnt(1) lgkmcnt(1)
	v_cmp_gt_i32_e64 s0, v18, v131
	s_waitcnt vmcnt(0) lgkmcnt(0)
	v_lshlrev_b32_e32 v17, 8, v16
	s_delay_alu instid0(VALU_DEP_2) | instskip(NEXT) | instid1(SALU_CYCLE_1)
	s_and_b32 s0, s0, vcc_lo
	v_cndmask_b32_e64 v18, 0x80000000, 0, s0
	s_delay_alu instid0(VALU_DEP_1)
	v_add3_u32 v5, v17, v5, v18
.LBB1_83:                               ; =>This Inner Loop Header: Depth=1
	v_readfirstlane_b32 s4, v6
	v_readfirstlane_b32 s5, v7
	v_readfirstlane_b32 s6, v8
	v_readfirstlane_b32 s7, v9
	s_delay_alu instid0(VALU_DEP_3) | instskip(NEXT) | instid1(VALU_DEP_2)
	v_cmp_eq_u64_e32 vcc_lo, s[4:5], v[6:7]
	v_cmp_eq_u64_e64 s0, s[6:7], v[8:9]
	s_delay_alu instid0(VALU_DEP_1) | instskip(NEXT) | instid1(SALU_CYCLE_1)
	s_and_b32 s0, vcc_lo, s0
	s_and_saveexec_b32 s0, s0
	buffer_store_b128 v[100:103], v5, s[4:7], 0 offen
                                        ; implicit-def: $vgpr100_vgpr101_vgpr102_vgpr103
                                        ; implicit-def: $vgpr5
	s_xor_b32 exec_lo, exec_lo, s0
	s_cbranch_execnz .LBB1_83
; %bb.84:
	s_mov_b32 exec_lo, s1
	s_clause 0x2
	flat_load_b32 v5, v[14:15] offset:12
	flat_load_b32 v17, v[14:15] offset:32
	;; [unrolled: 1-line block ×3, first 2 shown]
	s_mov_b32 s1, exec_lo
	s_waitcnt vmcnt(2) lgkmcnt(2)
	v_add_nc_u32_e32 v5, v5, v16
	s_waitcnt vmcnt(1) lgkmcnt(1)
	v_cmp_gt_i32_e32 vcc_lo, v17, v161
	s_waitcnt vmcnt(0) lgkmcnt(0)
	v_cmp_gt_i32_e64 s0, v18, v131
	v_lshl_add_u32 v4, v5, 6, v4
	s_delay_alu instid0(VALU_DEP_2) | instskip(NEXT) | instid1(SALU_CYCLE_1)
	s_and_b32 s0, s0, vcc_lo
	v_cndmask_b32_e64 v5, 0x80000000, 0, s0
	s_delay_alu instid0(VALU_DEP_1)
	v_lshl_add_u32 v5, v4, 2, v5
.LBB1_85:                               ; =>This Inner Loop Header: Depth=1
	v_readfirstlane_b32 s4, v6
	v_readfirstlane_b32 s5, v7
	;; [unrolled: 1-line block ×4, first 2 shown]
	s_delay_alu instid0(VALU_DEP_3) | instskip(NEXT) | instid1(VALU_DEP_2)
	v_cmp_eq_u64_e32 vcc_lo, s[4:5], v[6:7]
	v_cmp_eq_u64_e64 s0, s[6:7], v[8:9]
	s_delay_alu instid0(VALU_DEP_1) | instskip(NEXT) | instid1(SALU_CYCLE_1)
	s_and_b32 s0, vcc_lo, s0
	s_and_saveexec_b32 s0, s0
	buffer_store_b128 v[20:23], v5, s[4:7], 0 offen
                                        ; implicit-def: $vgpr20_vgpr21_vgpr22_vgpr23
                                        ; implicit-def: $vgpr5
	s_xor_b32 exec_lo, exec_lo, s0
	s_cbranch_execnz .LBB1_85
; %bb.86:
	s_mov_b32 exec_lo, s1
	s_clause 0x2
	flat_load_b32 v5, v[14:15] offset:32
	flat_load_b32 v16, v[14:15] offset:20
	;; [unrolled: 1-line block ×3, first 2 shown]
	s_mov_b32 s1, exec_lo
	s_waitcnt vmcnt(2) lgkmcnt(2)
	v_cmp_gt_i32_e32 vcc_lo, v5, v161
	s_waitcnt vmcnt(1) lgkmcnt(1)
	v_cmp_ge_i32_e64 s0, v16, v131
	s_waitcnt vmcnt(0) lgkmcnt(0)
	v_sub_nc_u32_e32 v4, v4, v17
	s_delay_alu instid0(VALU_DEP_2) | instskip(NEXT) | instid1(SALU_CYCLE_1)
	s_and_b32 s0, s0, vcc_lo
	v_cndmask_b32_e64 v5, 0x80000000, 0, s0
	s_delay_alu instid0(VALU_DEP_1)
	v_lshl_add_u32 v5, v4, 2, v5
.LBB1_87:                               ; =>This Inner Loop Header: Depth=1
	v_readfirstlane_b32 s4, v6
	v_readfirstlane_b32 s5, v7
	;; [unrolled: 1-line block ×4, first 2 shown]
	s_delay_alu instid0(VALU_DEP_3) | instskip(NEXT) | instid1(VALU_DEP_2)
	v_cmp_eq_u64_e32 vcc_lo, s[4:5], v[6:7]
	v_cmp_eq_u64_e64 s0, s[6:7], v[8:9]
	s_delay_alu instid0(VALU_DEP_1) | instskip(NEXT) | instid1(SALU_CYCLE_1)
	s_and_b32 s0, vcc_lo, s0
	s_and_saveexec_b32 s0, s0
	buffer_store_b128 v[96:99], v5, s[4:7], 0 offen
                                        ; implicit-def: $vgpr96_vgpr97_vgpr98_vgpr99
                                        ; implicit-def: $vgpr5
	s_xor_b32 exec_lo, exec_lo, s0
	s_cbranch_execnz .LBB1_87
; %bb.88:
	s_mov_b32 exec_lo, s1
	s_clause 0x2
	flat_load_b32 v5, v[14:15] offset:12
	flat_load_b32 v16, v[14:15] offset:32
	;; [unrolled: 1-line block ×3, first 2 shown]
	s_mov_b32 s1, exec_lo
	s_waitcnt vmcnt(2) lgkmcnt(2)
	v_lshlrev_b32_e32 v5, 6, v5
	s_waitcnt vmcnt(1) lgkmcnt(1)
	v_cmp_gt_i32_e32 vcc_lo, v16, v160
	s_waitcnt vmcnt(0) lgkmcnt(0)
	v_cmp_gt_i32_e64 s0, v17, v130
	v_sub_nc_u32_e32 v4, v4, v5
	s_delay_alu instid0(VALU_DEP_2) | instskip(NEXT) | instid1(SALU_CYCLE_1)
	s_and_b32 s0, s0, vcc_lo
	v_cndmask_b32_e64 v5, 0x80000000, 0, s0
	s_delay_alu instid0(VALU_DEP_1)
	v_lshl_add_u32 v5, v4, 2, v5
.LBB1_89:                               ; =>This Inner Loop Header: Depth=1
	v_readfirstlane_b32 s4, v6
	v_readfirstlane_b32 s5, v7
	;; [unrolled: 1-line block ×4, first 2 shown]
	s_delay_alu instid0(VALU_DEP_3) | instskip(NEXT) | instid1(VALU_DEP_2)
	v_cmp_eq_u64_e32 vcc_lo, s[4:5], v[6:7]
	v_cmp_eq_u64_e64 s0, s[6:7], v[8:9]
	s_delay_alu instid0(VALU_DEP_1) | instskip(NEXT) | instid1(SALU_CYCLE_1)
	s_and_b32 s0, vcc_lo, s0
	s_and_saveexec_b32 s0, s0
	buffer_store_b128 v[84:87], v5, s[4:7], 0 offen
                                        ; implicit-def: $vgpr84_vgpr85_vgpr86_vgpr87
                                        ; implicit-def: $vgpr5
	s_xor_b32 exec_lo, exec_lo, s0
	s_cbranch_execnz .LBB1_89
; %bb.90:
	s_mov_b32 exec_lo, s1
	s_clause 0x2
	flat_load_b32 v5, v[14:15] offset:32
	flat_load_b32 v16, v[14:15] offset:20
	;; [unrolled: 1-line block ×3, first 2 shown]
	s_mov_b32 s1, exec_lo
	s_waitcnt vmcnt(2) lgkmcnt(2)
	v_cmp_gt_i32_e32 vcc_lo, v5, v160
	s_waitcnt vmcnt(1) lgkmcnt(1)
	v_cmp_ge_i32_e64 s0, v16, v130
	s_waitcnt vmcnt(0) lgkmcnt(0)
	v_sub_nc_u32_e32 v4, v4, v17
	s_delay_alu instid0(VALU_DEP_2) | instskip(NEXT) | instid1(SALU_CYCLE_1)
	s_and_b32 s0, s0, vcc_lo
	v_cndmask_b32_e64 v5, 0x80000000, 0, s0
	s_delay_alu instid0(VALU_DEP_1)
	v_lshl_add_u32 v5, v4, 2, v5
.LBB1_91:                               ; =>This Inner Loop Header: Depth=1
	v_readfirstlane_b32 s4, v6
	v_readfirstlane_b32 s5, v7
	;; [unrolled: 1-line block ×4, first 2 shown]
	s_delay_alu instid0(VALU_DEP_3) | instskip(NEXT) | instid1(VALU_DEP_2)
	v_cmp_eq_u64_e32 vcc_lo, s[4:5], v[6:7]
	v_cmp_eq_u64_e64 s0, s[6:7], v[8:9]
	s_delay_alu instid0(VALU_DEP_1) | instskip(NEXT) | instid1(SALU_CYCLE_1)
	s_and_b32 s0, vcc_lo, s0
	s_and_saveexec_b32 s0, s0
	buffer_store_b128 v[36:39], v5, s[4:7], 0 offen
                                        ; implicit-def: $vgpr36_vgpr37_vgpr38_vgpr39
                                        ; implicit-def: $vgpr5
	s_xor_b32 exec_lo, exec_lo, s0
	s_cbranch_execnz .LBB1_91
; %bb.92:
	s_mov_b32 exec_lo, s1
	s_clause 0x2
	flat_load_b32 v5, v[14:15] offset:32
	flat_load_b32 v16, v[14:15] offset:20
	flat_load_b32 v17, v[14:15] offset:12
	s_mov_b32 s1, exec_lo
	s_waitcnt vmcnt(2) lgkmcnt(2)
	v_cmp_gt_i32_e32 vcc_lo, v5, v161
	s_waitcnt vmcnt(1) lgkmcnt(1)
	v_cmp_gt_i32_e64 s0, v16, v129
	s_waitcnt vmcnt(0) lgkmcnt(0)
	v_lshl_add_u32 v4, v17, 6, v4
	s_delay_alu instid0(VALU_DEP_2) | instskip(NEXT) | instid1(SALU_CYCLE_1)
	s_and_b32 s0, s0, vcc_lo
	v_cndmask_b32_e64 v5, 0x80000000, 0, s0
	s_delay_alu instid0(VALU_DEP_1)
	v_lshl_add_u32 v5, v4, 2, v5
.LBB1_93:                               ; =>This Inner Loop Header: Depth=1
	v_readfirstlane_b32 s4, v6
	v_readfirstlane_b32 s5, v7
	v_readfirstlane_b32 s6, v8
	v_readfirstlane_b32 s7, v9
	s_delay_alu instid0(VALU_DEP_3) | instskip(NEXT) | instid1(VALU_DEP_2)
	v_cmp_eq_u64_e32 vcc_lo, s[4:5], v[6:7]
	v_cmp_eq_u64_e64 s0, s[6:7], v[8:9]
	s_delay_alu instid0(VALU_DEP_1) | instskip(NEXT) | instid1(SALU_CYCLE_1)
	s_and_b32 s0, vcc_lo, s0
	s_and_saveexec_b32 s0, s0
	buffer_store_b128 v[52:55], v5, s[4:7], 0 offen
                                        ; implicit-def: $vgpr52_vgpr53_vgpr54_vgpr55
                                        ; implicit-def: $vgpr5
	s_xor_b32 exec_lo, exec_lo, s0
	s_cbranch_execnz .LBB1_93
; %bb.94:
	s_mov_b32 exec_lo, s1
	s_clause 0x2
	flat_load_b32 v5, v[14:15] offset:8
	flat_load_b32 v16, v[14:15] offset:32
	;; [unrolled: 1-line block ×3, first 2 shown]
	s_mov_b32 s1, exec_lo
	s_waitcnt vmcnt(2) lgkmcnt(2)
	v_sub_nc_u32_e32 v4, v4, v5
	s_waitcnt vmcnt(1) lgkmcnt(1)
	v_cmp_gt_i32_e32 vcc_lo, v16, v161
	s_waitcnt vmcnt(0) lgkmcnt(0)
	v_cmp_ge_i32_e64 s0, v17, v129
	v_lshlrev_b32_e32 v4, 2, v4
	s_delay_alu instid0(VALU_DEP_2) | instskip(NEXT) | instid1(SALU_CYCLE_1)
	s_and_b32 s0, s0, vcc_lo
	v_cndmask_b32_e64 v5, 0x80000000, 0, s0
	s_delay_alu instid0(VALU_DEP_1)
	v_add_nc_u32_e32 v5, v5, v4
.LBB1_95:                               ; =>This Inner Loop Header: Depth=1
	v_readfirstlane_b32 s4, v6
	v_readfirstlane_b32 s5, v7
	;; [unrolled: 1-line block ×4, first 2 shown]
	s_delay_alu instid0(VALU_DEP_3) | instskip(NEXT) | instid1(VALU_DEP_2)
	v_cmp_eq_u64_e32 vcc_lo, s[4:5], v[6:7]
	v_cmp_eq_u64_e64 s0, s[6:7], v[8:9]
	s_delay_alu instid0(VALU_DEP_1) | instskip(NEXT) | instid1(SALU_CYCLE_1)
	s_and_b32 s0, vcc_lo, s0
	s_and_saveexec_b32 s0, s0
	buffer_store_b128 v[10:13], v5, s[4:7], 0 offen
                                        ; implicit-def: $vgpr10_vgpr11_vgpr12_vgpr13
                                        ; implicit-def: $vgpr5
	s_xor_b32 exec_lo, exec_lo, s0
	s_cbranch_execnz .LBB1_95
; %bb.96:
	s_mov_b32 exec_lo, s1
	s_clause 0x2
	flat_load_b32 v5, v[14:15] offset:32
	flat_load_b32 v10, v[14:15] offset:12
	;; [unrolled: 1-line block ×3, first 2 shown]
	s_mov_b32 s1, exec_lo
	s_waitcnt vmcnt(2) lgkmcnt(2)
	v_cmp_gt_i32_e32 vcc_lo, v5, v160
	s_waitcnt vmcnt(1) lgkmcnt(1)
	v_lshlrev_b32_e32 v5, 8, v10
	s_waitcnt vmcnt(0) lgkmcnt(0)
	v_cmp_gt_i32_e64 s0, v11, v133
	s_delay_alu instid0(VALU_DEP_2) | instskip(NEXT) | instid1(VALU_DEP_2)
	v_sub_nc_u32_e32 v4, v4, v5
	s_and_b32 s0, s0, vcc_lo
	s_delay_alu instid0(SALU_CYCLE_1) | instskip(NEXT) | instid1(VALU_DEP_1)
	v_cndmask_b32_e64 v5, 0x80000000, 0, s0
	v_add_nc_u32_e32 v4, v4, v5
.LBB1_97:                               ; =>This Inner Loop Header: Depth=1
	v_readfirstlane_b32 s4, v6
	v_readfirstlane_b32 s5, v7
	;; [unrolled: 1-line block ×4, first 2 shown]
	s_delay_alu instid0(VALU_DEP_3) | instskip(NEXT) | instid1(VALU_DEP_2)
	v_cmp_eq_u64_e32 vcc_lo, s[4:5], v[6:7]
	v_cmp_eq_u64_e64 s0, s[6:7], v[8:9]
	s_delay_alu instid0(VALU_DEP_1) | instskip(NEXT) | instid1(SALU_CYCLE_1)
	s_and_b32 s0, vcc_lo, s0
	s_and_saveexec_b32 s0, s0
	buffer_store_b128 v[0:3], v4, s[4:7], 0 offen
                                        ; implicit-def: $vgpr6_vgpr7_vgpr8_vgpr9
                                        ; implicit-def: $vgpr0_vgpr1_vgpr2_vgpr3
                                        ; implicit-def: $vgpr4
	s_xor_b32 exec_lo, exec_lo, s0
	s_cbranch_execnz .LBB1_97
; %bb.98:
	s_mov_b32 exec_lo, s1
	s_setpc_b64 s[30:31]
.Lfunc_end1:
	.size	_ZN2ck32GridwiseGemmDlMultipleD_km_kn_mnILi256EffNS_5TupleIJfEEEfNS_16tensor_operation12element_wise11PassThroughES5_NS4_7AddReluELNS_25InMemoryDataOperationEnumE0ENS_16TensorDescriptorINS1_IJNS_5EmbedINS1_IJiiiEEESA_Lb0EEENS_11PassThroughIiEENS_3PadIiiiLb0EEESD_SD_NS9_INS1_IJiiEEESG_Lb0EEESD_NS_23Merge_v2_magic_divisionISG_EESJ_NS_8RightPadIiiLb0EEESL_NS_7UnMergeISG_Lb0EEESD_EEENS1_IJNS_8SequenceIJLi0EEEENSP_IJLi1EEEENSP_IJLi2EEEENSP_IJLi3EEEENSP_IJLi4EEEENSP_IJLi5EEEENSP_IJLi6EEEENSP_IJLi7ELi9EEEENSP_IJLi8ELi10EEEENSP_IJLi11EEEENSP_IJLi12EEEENSP_IJLi14EEEENSP_IJLi13EEEEEEENS1_IJNSP_IJLi1ELi2ELi3EEEESU_SV_SW_NSP_IJLi7EEEENSP_IJLi8ELi9EEEENSP_IJLi10EEEESZ_S10_S12_S11_NSP_IJLi15ELi16EEEENSP_IJLi17EEEEEEENSP_IJLi15ELi17ELi16EEEElEENS8_INS1_IJSN_SL_SL_SN_SD_EEENS1_IJSQ_SR_SS_SU_ST_EEENS1_IJNSP_IJLi1ELi2EEEEST_SU_NSP_IJLi5ELi6EEEES15_EEENSP_IJLi5ELi7ELi6EEEElEENS8_INS1_IJSH_SL_SL_EEENS1_IJSQ_SR_SS_EEENS1_IJS1F_ST_SU_EEENSP_IJLi3ELi4EEEElEELi128ELi128ELi16ELi1ELi4ELi4ELi1ENSP_IJLi8ELi2EEEES1P_NSP_IJLi8ELi1ELi1ELi1EEEENSP_IJLi2ELi1ELi128ELi1EEEENSP_IJLi1ELi2ELi0ELi3EEEES1S_NSP_IJLi4ELi1ELi1ELi1EEEES1S_NSP_IJLi1ELi1ELi1ELi1EEEES1Q_S1R_S1S_S1S_S1T_S1S_S1U_NSP_IJLi0ELi1ELi2ELi3ELi4ELi5EEEELi5ELi4EE3RunINS1_IJNS8_INS1_IJSH_SL_SL_NSM_INS1_IJiNS_17integral_constantIiLi2EEENS1Y_IiLi64EEEEEELb0EEES22_EEENS1_IJSQ_SR_SS_ST_SU_EEENS1_IJS1F_ST_SU_NSP_IJLi5ELi6ELi7EEEENSP_IJLi8ELi9ELi10EEEEEEENSP_IJLi5ELi6ELi7ELi8ELi9ELi10EEEElEEEEELb1ELb1ENS_31BlockToCTileMap_M00_N00_M01_N01ILi128ELi128ES1O_Lb0EEEEEvPKfS2E_NS1_IJS2E_EEEPfPvRKS5_S2J_RKS6_RKNS8_INS1_IJSB_SD_SF_SD_SD_SH_SD_SJ_SJ_SL_SL_SN_SD_SD_NSM_INS1_IJiNS1Y_IiLi128EEEEEELb0EEENSC_INS1Y_IiLi1EEEEEEEENS1_IJSQ_SR_SS_ST_SU_SV_SW_SX_SY_SZ_S10_S11_S12_NSP_IJLi15EEEES19_NSP_IJLi16EEEEEEENS1_IJS14_SU_SV_SW_S15_S16_S17_SZ_S10_S12_S11_S18_S19_NSP_IJLi18EEEENSP_IJLi19ELi20EEEENSP_IJLi21EEEEEEENSP_IJLi18ELi19ELi20ELi21EEEElEERKNS8_INS1_IJSN_SL_SL_SN_SD_SD_S2O_S2Q_EEENS1_IJSQ_SR_SS_SU_ST_SV_S15_SW_EEENS1_IJS1F_ST_SU_S1G_S15_NSP_IJLi8EEEENSP_IJLi9ELi10EEEESZ_EEENSP_IJLi8ELi9ELi10ELi11EEEElEERKT_RKS29_RKT2_NS1Y_IbXT0_EEENS1Y_IbXT1_EEE, .Lfunc_end1-_ZN2ck32GridwiseGemmDlMultipleD_km_kn_mnILi256EffNS_5TupleIJfEEEfNS_16tensor_operation12element_wise11PassThroughES5_NS4_7AddReluELNS_25InMemoryDataOperationEnumE0ENS_16TensorDescriptorINS1_IJNS_5EmbedINS1_IJiiiEEESA_Lb0EEENS_11PassThroughIiEENS_3PadIiiiLb0EEESD_SD_NS9_INS1_IJiiEEESG_Lb0EEESD_NS_23Merge_v2_magic_divisionISG_EESJ_NS_8RightPadIiiLb0EEESL_NS_7UnMergeISG_Lb0EEESD_EEENS1_IJNS_8SequenceIJLi0EEEENSP_IJLi1EEEENSP_IJLi2EEEENSP_IJLi3EEEENSP_IJLi4EEEENSP_IJLi5EEEENSP_IJLi6EEEENSP_IJLi7ELi9EEEENSP_IJLi8ELi10EEEENSP_IJLi11EEEENSP_IJLi12EEEENSP_IJLi14EEEENSP_IJLi13EEEEEEENS1_IJNSP_IJLi1ELi2ELi3EEEESU_SV_SW_NSP_IJLi7EEEENSP_IJLi8ELi9EEEENSP_IJLi10EEEESZ_S10_S12_S11_NSP_IJLi15ELi16EEEENSP_IJLi17EEEEEEENSP_IJLi15ELi17ELi16EEEElEENS8_INS1_IJSN_SL_SL_SN_SD_EEENS1_IJSQ_SR_SS_SU_ST_EEENS1_IJNSP_IJLi1ELi2EEEEST_SU_NSP_IJLi5ELi6EEEES15_EEENSP_IJLi5ELi7ELi6EEEElEENS8_INS1_IJSH_SL_SL_EEENS1_IJSQ_SR_SS_EEENS1_IJS1F_ST_SU_EEENSP_IJLi3ELi4EEEElEELi128ELi128ELi16ELi1ELi4ELi4ELi1ENSP_IJLi8ELi2EEEES1P_NSP_IJLi8ELi1ELi1ELi1EEEENSP_IJLi2ELi1ELi128ELi1EEEENSP_IJLi1ELi2ELi0ELi3EEEES1S_NSP_IJLi4ELi1ELi1ELi1EEEES1S_NSP_IJLi1ELi1ELi1ELi1EEEES1Q_S1R_S1S_S1S_S1T_S1S_S1U_NSP_IJLi0ELi1ELi2ELi3ELi4ELi5EEEELi5ELi4EE3RunINS1_IJNS8_INS1_IJSH_SL_SL_NSM_INS1_IJiNS_17integral_constantIiLi2EEENS1Y_IiLi64EEEEEELb0EEES22_EEENS1_IJSQ_SR_SS_ST_SU_EEENS1_IJS1F_ST_SU_NSP_IJLi5ELi6ELi7EEEENSP_IJLi8ELi9ELi10EEEEEEENSP_IJLi5ELi6ELi7ELi8ELi9ELi10EEEElEEEEELb1ELb1ENS_31BlockToCTileMap_M00_N00_M01_N01ILi128ELi128ES1O_Lb0EEEEEvPKfS2E_NS1_IJS2E_EEEPfPvRKS5_S2J_RKS6_RKNS8_INS1_IJSB_SD_SF_SD_SD_SH_SD_SJ_SJ_SL_SL_SN_SD_SD_NSM_INS1_IJiNS1Y_IiLi128EEEEEELb0EEENSC_INS1Y_IiLi1EEEEEEEENS1_IJSQ_SR_SS_ST_SU_SV_SW_SX_SY_SZ_S10_S11_S12_NSP_IJLi15EEEES19_NSP_IJLi16EEEEEEENS1_IJS14_SU_SV_SW_S15_S16_S17_SZ_S10_S12_S11_S18_S19_NSP_IJLi18EEEENSP_IJLi19ELi20EEEENSP_IJLi21EEEEEEENSP_IJLi18ELi19ELi20ELi21EEEElEERKNS8_INS1_IJSN_SL_SL_SN_SD_SD_S2O_S2Q_EEENS1_IJSQ_SR_SS_SU_ST_SV_S15_SW_EEENS1_IJS1F_ST_SU_S1G_S15_NSP_IJLi8EEEENSP_IJLi9ELi10EEEESZ_EEENSP_IJLi8ELi9ELi10ELi11EEEElEERKT_RKS29_RKT2_NS1Y_IbXT0_EEENS1Y_IbXT1_EEE
                                        ; -- End function
	.section	.AMDGPU.csdata,"",@progbits
; Function info:
; codeLenInByte = 95004
; NumSgprs: 34
; NumVgprs: 242
; ScratchSize: 0
; MemoryBound: 0
	.section	.text._ZN2ck16tensor_operation6device12_GLOBAL__N_137kernel_grouped_conv_fwd_dl_multiple_dINS_32GridwiseGemmDlMultipleD_km_kn_mnILi256EffNS_5TupleIJfEEEfNS0_12element_wise11PassThroughES8_NS7_7AddReluELNS_25InMemoryDataOperationEnumE0ENS_16TensorDescriptorINS5_IJNS_5EmbedINS5_IJiiiEEESD_Lb0EEENS_11PassThroughIiEENS_3PadIiiiLb0EEESG_SG_NSC_INS5_IJiiEEESJ_Lb0EEESG_NS_23Merge_v2_magic_divisionISJ_EESM_NS_8RightPadIiiLb0EEESO_NS_7UnMergeISJ_Lb0EEESG_EEENS5_IJNS_8SequenceIJLi0EEEENSS_IJLi1EEEENSS_IJLi2EEEENSS_IJLi3EEEENSS_IJLi4EEEENSS_IJLi5EEEENSS_IJLi6EEEENSS_IJLi7ELi9EEEENSS_IJLi8ELi10EEEENSS_IJLi11EEEENSS_IJLi12EEEENSS_IJLi14EEEENSS_IJLi13EEEEEEENS5_IJNSS_IJLi1ELi2ELi3EEEESX_SY_SZ_NSS_IJLi7EEEENSS_IJLi8ELi9EEEENSS_IJLi10EEEES12_S13_S15_S14_NSS_IJLi15ELi16EEEENSS_IJLi17EEEEEEENSS_IJLi15ELi17ELi16EEEElEENSB_INS5_IJSQ_SO_SO_SQ_SG_EEENS5_IJST_SU_SV_SX_SW_EEENS5_IJNSS_IJLi1ELi2EEEESW_SX_NSS_IJLi5ELi6EEEES18_EEENSS_IJLi5ELi7ELi6EEEElEENSB_INS5_IJSK_SO_SO_EEENS5_IJST_SU_SV_EEENS5_IJS1I_SW_SX_EEENSS_IJLi3ELi4EEEElEELi128ELi128ELi16ELi1ELi4ELi4ELi1ENSS_IJLi8ELi2EEEES1S_NSS_IJLi8ELi1ELi1ELi1EEEENSS_IJLi2ELi1ELi128ELi1EEEENSS_IJLi1ELi2ELi0ELi3EEEES1V_NSS_IJLi4ELi1ELi1ELi1EEEES1V_NSS_IJLi1ELi1ELi1ELi1EEEES1T_S1U_S1V_S1V_S1W_S1V_S1X_NSS_IJLi0ELi1ELi2ELi3ELi4ELi5EEEELi5ELi4EEEfNS5_IJPKfEEEfS8_S8_S9_NSB_INS5_IJSE_SG_SI_SG_SG_SK_SG_SM_SM_SO_SO_SQ_SG_SG_NSP_INS5_IJiNS_17integral_constantIiLi128EEEEEELb0EEENSF_INS23_IiLi1EEEEEEEENS5_IJST_SU_SV_SW_SX_SY_SZ_S10_S11_S12_S13_S14_S15_NSS_IJLi15EEEES1C_NSS_IJLi16EEEEEEENS5_IJS17_SX_SY_SZ_S18_S19_S1A_S12_S13_S15_S14_S1B_S1C_NSS_IJLi18EEEENSS_IJLi19ELi20EEEENSS_IJLi21EEEEEEENSS_IJLi18ELi19ELi20ELi21EEEElEENSB_INS5_IJSQ_SO_SO_SQ_SG_SG_S26_S28_EEENS5_IJST_SU_SV_SX_SW_SY_S18_SZ_EEENS5_IJS1I_SW_SX_S1J_S18_NSS_IJLi8EEEENSS_IJLi9ELi10EEEES12_EEENSS_IJLi8ELi9ELi10ELi11EEEElEENS5_IJNSB_INS5_IJSK_SO_SO_NSP_INS5_IJiNS23_IiLi2EEENS23_IiLi64EEEEEELb0EEES2T_EEENS5_IJST_SU_SV_SW_SX_EEENS5_IJS1I_SW_SX_NSS_IJLi5ELi6ELi7EEEENSS_IJLi8ELi9ELi10EEEEEEENSS_IJLi5ELi6ELi7ELi8ELi9ELi10EEEElEEEEES30_NS_31BlockToCTileMap_M00_N00_M01_N01ILi128ELi128ES1R_Lb0EEENS1_30ComputePtrOffsetOfStridedBatchILi1ELi1ELi1EvEELb1ELb1EEEvPKT0_S38_T1_PT2_T3_T4_T5_iT6_T7_T8_T9_T10_T11_,"axG",@progbits,_ZN2ck16tensor_operation6device12_GLOBAL__N_137kernel_grouped_conv_fwd_dl_multiple_dINS_32GridwiseGemmDlMultipleD_km_kn_mnILi256EffNS_5TupleIJfEEEfNS0_12element_wise11PassThroughES8_NS7_7AddReluELNS_25InMemoryDataOperationEnumE0ENS_16TensorDescriptorINS5_IJNS_5EmbedINS5_IJiiiEEESD_Lb0EEENS_11PassThroughIiEENS_3PadIiiiLb0EEESG_SG_NSC_INS5_IJiiEEESJ_Lb0EEESG_NS_23Merge_v2_magic_divisionISJ_EESM_NS_8RightPadIiiLb0EEESO_NS_7UnMergeISJ_Lb0EEESG_EEENS5_IJNS_8SequenceIJLi0EEEENSS_IJLi1EEEENSS_IJLi2EEEENSS_IJLi3EEEENSS_IJLi4EEEENSS_IJLi5EEEENSS_IJLi6EEEENSS_IJLi7ELi9EEEENSS_IJLi8ELi10EEEENSS_IJLi11EEEENSS_IJLi12EEEENSS_IJLi14EEEENSS_IJLi13EEEEEEENS5_IJNSS_IJLi1ELi2ELi3EEEESX_SY_SZ_NSS_IJLi7EEEENSS_IJLi8ELi9EEEENSS_IJLi10EEEES12_S13_S15_S14_NSS_IJLi15ELi16EEEENSS_IJLi17EEEEEEENSS_IJLi15ELi17ELi16EEEElEENSB_INS5_IJSQ_SO_SO_SQ_SG_EEENS5_IJST_SU_SV_SX_SW_EEENS5_IJNSS_IJLi1ELi2EEEESW_SX_NSS_IJLi5ELi6EEEES18_EEENSS_IJLi5ELi7ELi6EEEElEENSB_INS5_IJSK_SO_SO_EEENS5_IJST_SU_SV_EEENS5_IJS1I_SW_SX_EEENSS_IJLi3ELi4EEEElEELi128ELi128ELi16ELi1ELi4ELi4ELi1ENSS_IJLi8ELi2EEEES1S_NSS_IJLi8ELi1ELi1ELi1EEEENSS_IJLi2ELi1ELi128ELi1EEEENSS_IJLi1ELi2ELi0ELi3EEEES1V_NSS_IJLi4ELi1ELi1ELi1EEEES1V_NSS_IJLi1ELi1ELi1ELi1EEEES1T_S1U_S1V_S1V_S1W_S1V_S1X_NSS_IJLi0ELi1ELi2ELi3ELi4ELi5EEEELi5ELi4EEEfNS5_IJPKfEEEfS8_S8_S9_NSB_INS5_IJSE_SG_SI_SG_SG_SK_SG_SM_SM_SO_SO_SQ_SG_SG_NSP_INS5_IJiNS_17integral_constantIiLi128EEEEEELb0EEENSF_INS23_IiLi1EEEEEEEENS5_IJST_SU_SV_SW_SX_SY_SZ_S10_S11_S12_S13_S14_S15_NSS_IJLi15EEEES1C_NSS_IJLi16EEEEEEENS5_IJS17_SX_SY_SZ_S18_S19_S1A_S12_S13_S15_S14_S1B_S1C_NSS_IJLi18EEEENSS_IJLi19ELi20EEEENSS_IJLi21EEEEEEENSS_IJLi18ELi19ELi20ELi21EEEElEENSB_INS5_IJSQ_SO_SO_SQ_SG_SG_S26_S28_EEENS5_IJST_SU_SV_SX_SW_SY_S18_SZ_EEENS5_IJS1I_SW_SX_S1J_S18_NSS_IJLi8EEEENSS_IJLi9ELi10EEEES12_EEENSS_IJLi8ELi9ELi10ELi11EEEElEENS5_IJNSB_INS5_IJSK_SO_SO_NSP_INS5_IJiNS23_IiLi2EEENS23_IiLi64EEEEEELb0EEES2T_EEENS5_IJST_SU_SV_SW_SX_EEENS5_IJS1I_SW_SX_NSS_IJLi5ELi6ELi7EEEENSS_IJLi8ELi9ELi10EEEEEEENSS_IJLi5ELi6ELi7ELi8ELi9ELi10EEEElEEEEES30_NS_31BlockToCTileMap_M00_N00_M01_N01ILi128ELi128ES1R_Lb0EEENS1_30ComputePtrOffsetOfStridedBatchILi1ELi1ELi1EvEELb1ELb1EEEvPKT0_S38_T1_PT2_T3_T4_T5_iT6_T7_T8_T9_T10_T11_,comdat
	.globl	_ZN2ck16tensor_operation6device12_GLOBAL__N_137kernel_grouped_conv_fwd_dl_multiple_dINS_32GridwiseGemmDlMultipleD_km_kn_mnILi256EffNS_5TupleIJfEEEfNS0_12element_wise11PassThroughES8_NS7_7AddReluELNS_25InMemoryDataOperationEnumE0ENS_16TensorDescriptorINS5_IJNS_5EmbedINS5_IJiiiEEESD_Lb0EEENS_11PassThroughIiEENS_3PadIiiiLb0EEESG_SG_NSC_INS5_IJiiEEESJ_Lb0EEESG_NS_23Merge_v2_magic_divisionISJ_EESM_NS_8RightPadIiiLb0EEESO_NS_7UnMergeISJ_Lb0EEESG_EEENS5_IJNS_8SequenceIJLi0EEEENSS_IJLi1EEEENSS_IJLi2EEEENSS_IJLi3EEEENSS_IJLi4EEEENSS_IJLi5EEEENSS_IJLi6EEEENSS_IJLi7ELi9EEEENSS_IJLi8ELi10EEEENSS_IJLi11EEEENSS_IJLi12EEEENSS_IJLi14EEEENSS_IJLi13EEEEEEENS5_IJNSS_IJLi1ELi2ELi3EEEESX_SY_SZ_NSS_IJLi7EEEENSS_IJLi8ELi9EEEENSS_IJLi10EEEES12_S13_S15_S14_NSS_IJLi15ELi16EEEENSS_IJLi17EEEEEEENSS_IJLi15ELi17ELi16EEEElEENSB_INS5_IJSQ_SO_SO_SQ_SG_EEENS5_IJST_SU_SV_SX_SW_EEENS5_IJNSS_IJLi1ELi2EEEESW_SX_NSS_IJLi5ELi6EEEES18_EEENSS_IJLi5ELi7ELi6EEEElEENSB_INS5_IJSK_SO_SO_EEENS5_IJST_SU_SV_EEENS5_IJS1I_SW_SX_EEENSS_IJLi3ELi4EEEElEELi128ELi128ELi16ELi1ELi4ELi4ELi1ENSS_IJLi8ELi2EEEES1S_NSS_IJLi8ELi1ELi1ELi1EEEENSS_IJLi2ELi1ELi128ELi1EEEENSS_IJLi1ELi2ELi0ELi3EEEES1V_NSS_IJLi4ELi1ELi1ELi1EEEES1V_NSS_IJLi1ELi1ELi1ELi1EEEES1T_S1U_S1V_S1V_S1W_S1V_S1X_NSS_IJLi0ELi1ELi2ELi3ELi4ELi5EEEELi5ELi4EEEfNS5_IJPKfEEEfS8_S8_S9_NSB_INS5_IJSE_SG_SI_SG_SG_SK_SG_SM_SM_SO_SO_SQ_SG_SG_NSP_INS5_IJiNS_17integral_constantIiLi128EEEEEELb0EEENSF_INS23_IiLi1EEEEEEEENS5_IJST_SU_SV_SW_SX_SY_SZ_S10_S11_S12_S13_S14_S15_NSS_IJLi15EEEES1C_NSS_IJLi16EEEEEEENS5_IJS17_SX_SY_SZ_S18_S19_S1A_S12_S13_S15_S14_S1B_S1C_NSS_IJLi18EEEENSS_IJLi19ELi20EEEENSS_IJLi21EEEEEEENSS_IJLi18ELi19ELi20ELi21EEEElEENSB_INS5_IJSQ_SO_SO_SQ_SG_SG_S26_S28_EEENS5_IJST_SU_SV_SX_SW_SY_S18_SZ_EEENS5_IJS1I_SW_SX_S1J_S18_NSS_IJLi8EEEENSS_IJLi9ELi10EEEES12_EEENSS_IJLi8ELi9ELi10ELi11EEEElEENS5_IJNSB_INS5_IJSK_SO_SO_NSP_INS5_IJiNS23_IiLi2EEENS23_IiLi64EEEEEELb0EEES2T_EEENS5_IJST_SU_SV_SW_SX_EEENS5_IJS1I_SW_SX_NSS_IJLi5ELi6ELi7EEEENSS_IJLi8ELi9ELi10EEEEEEENSS_IJLi5ELi6ELi7ELi8ELi9ELi10EEEElEEEEES30_NS_31BlockToCTileMap_M00_N00_M01_N01ILi128ELi128ES1R_Lb0EEENS1_30ComputePtrOffsetOfStridedBatchILi1ELi1ELi1EvEELb1ELb1EEEvPKT0_S38_T1_PT2_T3_T4_T5_iT6_T7_T8_T9_T10_T11_ ; -- Begin function _ZN2ck16tensor_operation6device12_GLOBAL__N_137kernel_grouped_conv_fwd_dl_multiple_dINS_32GridwiseGemmDlMultipleD_km_kn_mnILi256EffNS_5TupleIJfEEEfNS0_12element_wise11PassThroughES8_NS7_7AddReluELNS_25InMemoryDataOperationEnumE0ENS_16TensorDescriptorINS5_IJNS_5EmbedINS5_IJiiiEEESD_Lb0EEENS_11PassThroughIiEENS_3PadIiiiLb0EEESG_SG_NSC_INS5_IJiiEEESJ_Lb0EEESG_NS_23Merge_v2_magic_divisionISJ_EESM_NS_8RightPadIiiLb0EEESO_NS_7UnMergeISJ_Lb0EEESG_EEENS5_IJNS_8SequenceIJLi0EEEENSS_IJLi1EEEENSS_IJLi2EEEENSS_IJLi3EEEENSS_IJLi4EEEENSS_IJLi5EEEENSS_IJLi6EEEENSS_IJLi7ELi9EEEENSS_IJLi8ELi10EEEENSS_IJLi11EEEENSS_IJLi12EEEENSS_IJLi14EEEENSS_IJLi13EEEEEEENS5_IJNSS_IJLi1ELi2ELi3EEEESX_SY_SZ_NSS_IJLi7EEEENSS_IJLi8ELi9EEEENSS_IJLi10EEEES12_S13_S15_S14_NSS_IJLi15ELi16EEEENSS_IJLi17EEEEEEENSS_IJLi15ELi17ELi16EEEElEENSB_INS5_IJSQ_SO_SO_SQ_SG_EEENS5_IJST_SU_SV_SX_SW_EEENS5_IJNSS_IJLi1ELi2EEEESW_SX_NSS_IJLi5ELi6EEEES18_EEENSS_IJLi5ELi7ELi6EEEElEENSB_INS5_IJSK_SO_SO_EEENS5_IJST_SU_SV_EEENS5_IJS1I_SW_SX_EEENSS_IJLi3ELi4EEEElEELi128ELi128ELi16ELi1ELi4ELi4ELi1ENSS_IJLi8ELi2EEEES1S_NSS_IJLi8ELi1ELi1ELi1EEEENSS_IJLi2ELi1ELi128ELi1EEEENSS_IJLi1ELi2ELi0ELi3EEEES1V_NSS_IJLi4ELi1ELi1ELi1EEEES1V_NSS_IJLi1ELi1ELi1ELi1EEEES1T_S1U_S1V_S1V_S1W_S1V_S1X_NSS_IJLi0ELi1ELi2ELi3ELi4ELi5EEEELi5ELi4EEEfNS5_IJPKfEEEfS8_S8_S9_NSB_INS5_IJSE_SG_SI_SG_SG_SK_SG_SM_SM_SO_SO_SQ_SG_SG_NSP_INS5_IJiNS_17integral_constantIiLi128EEEEEELb0EEENSF_INS23_IiLi1EEEEEEEENS5_IJST_SU_SV_SW_SX_SY_SZ_S10_S11_S12_S13_S14_S15_NSS_IJLi15EEEES1C_NSS_IJLi16EEEEEEENS5_IJS17_SX_SY_SZ_S18_S19_S1A_S12_S13_S15_S14_S1B_S1C_NSS_IJLi18EEEENSS_IJLi19ELi20EEEENSS_IJLi21EEEEEEENSS_IJLi18ELi19ELi20ELi21EEEElEENSB_INS5_IJSQ_SO_SO_SQ_SG_SG_S26_S28_EEENS5_IJST_SU_SV_SX_SW_SY_S18_SZ_EEENS5_IJS1I_SW_SX_S1J_S18_NSS_IJLi8EEEENSS_IJLi9ELi10EEEES12_EEENSS_IJLi8ELi9ELi10ELi11EEEElEENS5_IJNSB_INS5_IJSK_SO_SO_NSP_INS5_IJiNS23_IiLi2EEENS23_IiLi64EEEEEELb0EEES2T_EEENS5_IJST_SU_SV_SW_SX_EEENS5_IJS1I_SW_SX_NSS_IJLi5ELi6ELi7EEEENSS_IJLi8ELi9ELi10EEEEEEENSS_IJLi5ELi6ELi7ELi8ELi9ELi10EEEElEEEEES30_NS_31BlockToCTileMap_M00_N00_M01_N01ILi128ELi128ES1R_Lb0EEENS1_30ComputePtrOffsetOfStridedBatchILi1ELi1ELi1EvEELb1ELb1EEEvPKT0_S38_T1_PT2_T3_T4_T5_iT6_T7_T8_T9_T10_T11_
	.p2align	8
	.type	_ZN2ck16tensor_operation6device12_GLOBAL__N_137kernel_grouped_conv_fwd_dl_multiple_dINS_32GridwiseGemmDlMultipleD_km_kn_mnILi256EffNS_5TupleIJfEEEfNS0_12element_wise11PassThroughES8_NS7_7AddReluELNS_25InMemoryDataOperationEnumE0ENS_16TensorDescriptorINS5_IJNS_5EmbedINS5_IJiiiEEESD_Lb0EEENS_11PassThroughIiEENS_3PadIiiiLb0EEESG_SG_NSC_INS5_IJiiEEESJ_Lb0EEESG_NS_23Merge_v2_magic_divisionISJ_EESM_NS_8RightPadIiiLb0EEESO_NS_7UnMergeISJ_Lb0EEESG_EEENS5_IJNS_8SequenceIJLi0EEEENSS_IJLi1EEEENSS_IJLi2EEEENSS_IJLi3EEEENSS_IJLi4EEEENSS_IJLi5EEEENSS_IJLi6EEEENSS_IJLi7ELi9EEEENSS_IJLi8ELi10EEEENSS_IJLi11EEEENSS_IJLi12EEEENSS_IJLi14EEEENSS_IJLi13EEEEEEENS5_IJNSS_IJLi1ELi2ELi3EEEESX_SY_SZ_NSS_IJLi7EEEENSS_IJLi8ELi9EEEENSS_IJLi10EEEES12_S13_S15_S14_NSS_IJLi15ELi16EEEENSS_IJLi17EEEEEEENSS_IJLi15ELi17ELi16EEEElEENSB_INS5_IJSQ_SO_SO_SQ_SG_EEENS5_IJST_SU_SV_SX_SW_EEENS5_IJNSS_IJLi1ELi2EEEESW_SX_NSS_IJLi5ELi6EEEES18_EEENSS_IJLi5ELi7ELi6EEEElEENSB_INS5_IJSK_SO_SO_EEENS5_IJST_SU_SV_EEENS5_IJS1I_SW_SX_EEENSS_IJLi3ELi4EEEElEELi128ELi128ELi16ELi1ELi4ELi4ELi1ENSS_IJLi8ELi2EEEES1S_NSS_IJLi8ELi1ELi1ELi1EEEENSS_IJLi2ELi1ELi128ELi1EEEENSS_IJLi1ELi2ELi0ELi3EEEES1V_NSS_IJLi4ELi1ELi1ELi1EEEES1V_NSS_IJLi1ELi1ELi1ELi1EEEES1T_S1U_S1V_S1V_S1W_S1V_S1X_NSS_IJLi0ELi1ELi2ELi3ELi4ELi5EEEELi5ELi4EEEfNS5_IJPKfEEEfS8_S8_S9_NSB_INS5_IJSE_SG_SI_SG_SG_SK_SG_SM_SM_SO_SO_SQ_SG_SG_NSP_INS5_IJiNS_17integral_constantIiLi128EEEEEELb0EEENSF_INS23_IiLi1EEEEEEEENS5_IJST_SU_SV_SW_SX_SY_SZ_S10_S11_S12_S13_S14_S15_NSS_IJLi15EEEES1C_NSS_IJLi16EEEEEEENS5_IJS17_SX_SY_SZ_S18_S19_S1A_S12_S13_S15_S14_S1B_S1C_NSS_IJLi18EEEENSS_IJLi19ELi20EEEENSS_IJLi21EEEEEEENSS_IJLi18ELi19ELi20ELi21EEEElEENSB_INS5_IJSQ_SO_SO_SQ_SG_SG_S26_S28_EEENS5_IJST_SU_SV_SX_SW_SY_S18_SZ_EEENS5_IJS1I_SW_SX_S1J_S18_NSS_IJLi8EEEENSS_IJLi9ELi10EEEES12_EEENSS_IJLi8ELi9ELi10ELi11EEEElEENS5_IJNSB_INS5_IJSK_SO_SO_NSP_INS5_IJiNS23_IiLi2EEENS23_IiLi64EEEEEELb0EEES2T_EEENS5_IJST_SU_SV_SW_SX_EEENS5_IJS1I_SW_SX_NSS_IJLi5ELi6ELi7EEEENSS_IJLi8ELi9ELi10EEEEEEENSS_IJLi5ELi6ELi7ELi8ELi9ELi10EEEElEEEEES30_NS_31BlockToCTileMap_M00_N00_M01_N01ILi128ELi128ES1R_Lb0EEENS1_30ComputePtrOffsetOfStridedBatchILi1ELi1ELi1EvEELb1ELb1EEEvPKT0_S38_T1_PT2_T3_T4_T5_iT6_T7_T8_T9_T10_T11_,@function
_ZN2ck16tensor_operation6device12_GLOBAL__N_137kernel_grouped_conv_fwd_dl_multiple_dINS_32GridwiseGemmDlMultipleD_km_kn_mnILi256EffNS_5TupleIJfEEEfNS0_12element_wise11PassThroughES8_NS7_7AddReluELNS_25InMemoryDataOperationEnumE0ENS_16TensorDescriptorINS5_IJNS_5EmbedINS5_IJiiiEEESD_Lb0EEENS_11PassThroughIiEENS_3PadIiiiLb0EEESG_SG_NSC_INS5_IJiiEEESJ_Lb0EEESG_NS_23Merge_v2_magic_divisionISJ_EESM_NS_8RightPadIiiLb0EEESO_NS_7UnMergeISJ_Lb0EEESG_EEENS5_IJNS_8SequenceIJLi0EEEENSS_IJLi1EEEENSS_IJLi2EEEENSS_IJLi3EEEENSS_IJLi4EEEENSS_IJLi5EEEENSS_IJLi6EEEENSS_IJLi7ELi9EEEENSS_IJLi8ELi10EEEENSS_IJLi11EEEENSS_IJLi12EEEENSS_IJLi14EEEENSS_IJLi13EEEEEEENS5_IJNSS_IJLi1ELi2ELi3EEEESX_SY_SZ_NSS_IJLi7EEEENSS_IJLi8ELi9EEEENSS_IJLi10EEEES12_S13_S15_S14_NSS_IJLi15ELi16EEEENSS_IJLi17EEEEEEENSS_IJLi15ELi17ELi16EEEElEENSB_INS5_IJSQ_SO_SO_SQ_SG_EEENS5_IJST_SU_SV_SX_SW_EEENS5_IJNSS_IJLi1ELi2EEEESW_SX_NSS_IJLi5ELi6EEEES18_EEENSS_IJLi5ELi7ELi6EEEElEENSB_INS5_IJSK_SO_SO_EEENS5_IJST_SU_SV_EEENS5_IJS1I_SW_SX_EEENSS_IJLi3ELi4EEEElEELi128ELi128ELi16ELi1ELi4ELi4ELi1ENSS_IJLi8ELi2EEEES1S_NSS_IJLi8ELi1ELi1ELi1EEEENSS_IJLi2ELi1ELi128ELi1EEEENSS_IJLi1ELi2ELi0ELi3EEEES1V_NSS_IJLi4ELi1ELi1ELi1EEEES1V_NSS_IJLi1ELi1ELi1ELi1EEEES1T_S1U_S1V_S1V_S1W_S1V_S1X_NSS_IJLi0ELi1ELi2ELi3ELi4ELi5EEEELi5ELi4EEEfNS5_IJPKfEEEfS8_S8_S9_NSB_INS5_IJSE_SG_SI_SG_SG_SK_SG_SM_SM_SO_SO_SQ_SG_SG_NSP_INS5_IJiNS_17integral_constantIiLi128EEEEEELb0EEENSF_INS23_IiLi1EEEEEEEENS5_IJST_SU_SV_SW_SX_SY_SZ_S10_S11_S12_S13_S14_S15_NSS_IJLi15EEEES1C_NSS_IJLi16EEEEEEENS5_IJS17_SX_SY_SZ_S18_S19_S1A_S12_S13_S15_S14_S1B_S1C_NSS_IJLi18EEEENSS_IJLi19ELi20EEEENSS_IJLi21EEEEEEENSS_IJLi18ELi19ELi20ELi21EEEElEENSB_INS5_IJSQ_SO_SO_SQ_SG_SG_S26_S28_EEENS5_IJST_SU_SV_SX_SW_SY_S18_SZ_EEENS5_IJS1I_SW_SX_S1J_S18_NSS_IJLi8EEEENSS_IJLi9ELi10EEEES12_EEENSS_IJLi8ELi9ELi10ELi11EEEElEENS5_IJNSB_INS5_IJSK_SO_SO_NSP_INS5_IJiNS23_IiLi2EEENS23_IiLi64EEEEEELb0EEES2T_EEENS5_IJST_SU_SV_SW_SX_EEENS5_IJS1I_SW_SX_NSS_IJLi5ELi6ELi7EEEENSS_IJLi8ELi9ELi10EEEEEEENSS_IJLi5ELi6ELi7ELi8ELi9ELi10EEEElEEEEES30_NS_31BlockToCTileMap_M00_N00_M01_N01ILi128ELi128ES1R_Lb0EEENS1_30ComputePtrOffsetOfStridedBatchILi1ELi1ELi1EvEELb1ELb1EEEvPKT0_S38_T1_PT2_T3_T4_T5_iT6_T7_T8_T9_T10_T11_: ; @_ZN2ck16tensor_operation6device12_GLOBAL__N_137kernel_grouped_conv_fwd_dl_multiple_dINS_32GridwiseGemmDlMultipleD_km_kn_mnILi256EffNS_5TupleIJfEEEfNS0_12element_wise11PassThroughES8_NS7_7AddReluELNS_25InMemoryDataOperationEnumE0ENS_16TensorDescriptorINS5_IJNS_5EmbedINS5_IJiiiEEESD_Lb0EEENS_11PassThroughIiEENS_3PadIiiiLb0EEESG_SG_NSC_INS5_IJiiEEESJ_Lb0EEESG_NS_23Merge_v2_magic_divisionISJ_EESM_NS_8RightPadIiiLb0EEESO_NS_7UnMergeISJ_Lb0EEESG_EEENS5_IJNS_8SequenceIJLi0EEEENSS_IJLi1EEEENSS_IJLi2EEEENSS_IJLi3EEEENSS_IJLi4EEEENSS_IJLi5EEEENSS_IJLi6EEEENSS_IJLi7ELi9EEEENSS_IJLi8ELi10EEEENSS_IJLi11EEEENSS_IJLi12EEEENSS_IJLi14EEEENSS_IJLi13EEEEEEENS5_IJNSS_IJLi1ELi2ELi3EEEESX_SY_SZ_NSS_IJLi7EEEENSS_IJLi8ELi9EEEENSS_IJLi10EEEES12_S13_S15_S14_NSS_IJLi15ELi16EEEENSS_IJLi17EEEEEEENSS_IJLi15ELi17ELi16EEEElEENSB_INS5_IJSQ_SO_SO_SQ_SG_EEENS5_IJST_SU_SV_SX_SW_EEENS5_IJNSS_IJLi1ELi2EEEESW_SX_NSS_IJLi5ELi6EEEES18_EEENSS_IJLi5ELi7ELi6EEEElEENSB_INS5_IJSK_SO_SO_EEENS5_IJST_SU_SV_EEENS5_IJS1I_SW_SX_EEENSS_IJLi3ELi4EEEElEELi128ELi128ELi16ELi1ELi4ELi4ELi1ENSS_IJLi8ELi2EEEES1S_NSS_IJLi8ELi1ELi1ELi1EEEENSS_IJLi2ELi1ELi128ELi1EEEENSS_IJLi1ELi2ELi0ELi3EEEES1V_NSS_IJLi4ELi1ELi1ELi1EEEES1V_NSS_IJLi1ELi1ELi1ELi1EEEES1T_S1U_S1V_S1V_S1W_S1V_S1X_NSS_IJLi0ELi1ELi2ELi3ELi4ELi5EEEELi5ELi4EEEfNS5_IJPKfEEEfS8_S8_S9_NSB_INS5_IJSE_SG_SI_SG_SG_SK_SG_SM_SM_SO_SO_SQ_SG_SG_NSP_INS5_IJiNS_17integral_constantIiLi128EEEEEELb0EEENSF_INS23_IiLi1EEEEEEEENS5_IJST_SU_SV_SW_SX_SY_SZ_S10_S11_S12_S13_S14_S15_NSS_IJLi15EEEES1C_NSS_IJLi16EEEEEEENS5_IJS17_SX_SY_SZ_S18_S19_S1A_S12_S13_S15_S14_S1B_S1C_NSS_IJLi18EEEENSS_IJLi19ELi20EEEENSS_IJLi21EEEEEEENSS_IJLi18ELi19ELi20ELi21EEEElEENSB_INS5_IJSQ_SO_SO_SQ_SG_SG_S26_S28_EEENS5_IJST_SU_SV_SX_SW_SY_S18_SZ_EEENS5_IJS1I_SW_SX_S1J_S18_NSS_IJLi8EEEENSS_IJLi9ELi10EEEES12_EEENSS_IJLi8ELi9ELi10ELi11EEEElEENS5_IJNSB_INS5_IJSK_SO_SO_NSP_INS5_IJiNS23_IiLi2EEENS23_IiLi64EEEEEELb0EEES2T_EEENS5_IJST_SU_SV_SW_SX_EEENS5_IJS1I_SW_SX_NSS_IJLi5ELi6ELi7EEEENSS_IJLi8ELi9ELi10EEEEEEENSS_IJLi5ELi6ELi7ELi8ELi9ELi10EEEElEEEEES30_NS_31BlockToCTileMap_M00_N00_M01_N01ILi128ELi128ES1R_Lb0EEENS1_30ComputePtrOffsetOfStridedBatchILi1ELi1ELi1EvEELb1ELb1EEEvPKT0_S38_T1_PT2_T3_T4_T5_iT6_T7_T8_T9_T10_T11_
; %bb.0:
	s_clause 0x5
	s_load_b256 s[52:59], s[0:1], 0xc8
	s_load_b256 s[60:67], s[0:1], 0xa8
	;; [unrolled: 1-line block ×4, first 2 shown]
	s_load_b32 s13, s[0:1], 0x24
	s_load_b256 s[36:43], s[0:1], 0x48
	s_mov_b32 s12, s15
	s_clause 0x3
	s_load_b256 s[4:11], s[0:1], 0x0
	s_load_b256 s[16:23], s[0:1], 0x28
	s_load_b64 s[14:15], s[0:1], 0xe8
	s_load_b256 s[24:31], s[0:1], 0xf0
	s_mov_b64 s[2:3], src_private_base
	s_movk_i32 s32, 0x240
	s_waitcnt lgkmcnt(0)
	v_dual_mov_b32 v1, s56 :: v_dual_mov_b32 v2, s57
	v_dual_mov_b32 v3, s58 :: v_dual_mov_b32 v4, s59
	s_abs_i32 s2, s13
	v_dual_mov_b32 v5, s52 :: v_dual_mov_b32 v6, s53
	v_cvt_f32_u32_e32 v33, s2
	v_dual_mov_b32 v7, s54 :: v_dual_mov_b32 v8, s55
	v_dual_mov_b32 v9, s64 :: v_dual_mov_b32 v10, s65
	;; [unrolled: 1-line block ×5, first 2 shown]
	s_clause 0x3
	scratch_store_b128 off, v[1:4], off offset:176
	scratch_store_b128 off, v[5:8], off offset:160
	;; [unrolled: 1-line block ×4, first 2 shown]
	v_rcp_iflag_f32_e32 v11, v33
	v_dual_mov_b32 v17, s72 :: v_dual_mov_b32 v18, s73
	v_dual_mov_b32 v19, s74 :: v_dual_mov_b32 v20, s75
	;; [unrolled: 1-line block ×12, first 2 shown]
	s_clause 0x5
	scratch_store_b128 off, v[17:20], off offset:112
	scratch_store_b128 off, v[21:24], off offset:96
	scratch_store_b128 off, v[25:28], off offset:80
	scratch_store_b128 off, v[29:32], off offset:64
	scratch_store_b128 off, v[1:4], off offset:48
	scratch_store_b128 off, v[5:8], off offset:32
	v_dual_mov_b32 v1, s20 :: v_dual_mov_b32 v2, s21
	v_dual_mov_b32 v3, s22 :: v_dual_mov_b32 v4, s23
	;; [unrolled: 1-line block ×4, first 2 shown]
	s_load_b32 s14, s[0:1], 0x288
	v_dual_mov_b32 v7, s18 :: v_dual_mov_b32 v8, s19
	v_mul_f32_e32 v11, 0x4f7ffffe, v11
	s_clause 0x2
	scratch_store_b128 off, v[1:4], off offset:16
	scratch_store_b128 off, v[5:8], off
	scratch_store_b64 off, v[9:10], off offset:192
	v_dual_mov_b32 v1, s24 :: v_dual_mov_b32 v4, s27
	v_mov_b32_e32 v2, s25
	v_cvt_u32_f32_e32 v17, v11
	s_load_b256 s[40:47], s[0:1], 0x110
	s_sub_i32 s16, 0, s2
	v_dual_mov_b32 v5, s28 :: v_dual_mov_b32 v8, s31
	s_delay_alu instid0(VALU_DEP_2) | instskip(SKIP_3) | instid1(VALU_DEP_3)
	v_readfirstlane_b32 s15, v17
	v_dual_mov_b32 v3, s26 :: v_dual_mov_b32 v6, s29
	v_mov_b32_e32 v7, s30
	s_load_b256 s[24:31], s[0:1], 0x130
	s_mul_i32 s33, s16, s15
	s_waitcnt lgkmcnt(0)
	s_abs_i32 s34, s14
	s_mul_hi_u32 s33, s15, s33
	s_xor_b32 s13, s14, s13
	s_add_i32 s15, s15, s33
	s_load_b256 s[16:23], s[0:1], 0x190
	s_mul_hi_u32 s15, s34, s15
	s_ashr_i32 s13, s13, 31
	s_mul_i32 s14, s15, s2
	s_add_i32 s33, s15, 1
	s_sub_i32 s14, s34, s14
	v_dual_mov_b32 v9, s40 :: v_dual_mov_b32 v12, s43
	s_sub_i32 s34, s14, s2
	s_cmp_ge_u32 s14, s2
	v_dual_mov_b32 v13, s44 :: v_dual_mov_b32 v16, s47
	s_cselect_b32 s15, s33, s15
	v_dual_mov_b32 v11, s42 :: v_dual_mov_b32 v14, s45
	v_mov_b32_e32 v15, s46
	s_load_b256 s[44:51], s[0:1], 0x170
	s_cselect_b32 s14, s34, s14
	v_mov_b32_e32 v10, s41
	s_load_b256 s[36:43], s[0:1], 0x150
	s_add_i32 s33, s15, 1
	s_cmp_ge_u32 s14, s2
	s_load_b256 s[52:59], s[0:1], 0x1d0
	s_cselect_b32 s2, s33, s15
	s_clause 0x1
	scratch_store_b128 off, v[1:4], off offset:200
	scratch_store_b128 off, v[5:8], off offset:216
	s_xor_b32 s2, s2, s13
	v_dual_mov_b32 v1, s24 :: v_dual_mov_b32 v4, s27
	s_sub_i32 s2, s2, s13
	v_mov_b32_e32 v2, s25
	s_abs_i32 s13, s2
	s_clause 0x1
	scratch_store_b128 off, v[9:12], off offset:232
	scratch_store_b128 off, v[13:16], off offset:248
	v_cvt_f32_u32_e32 v13, s13
	v_mov_b32_e32 v3, s26
	v_dual_mov_b32 v5, s28 :: v_dual_mov_b32 v8, s31
	s_waitcnt lgkmcnt(0)
	v_dual_mov_b32 v9, s16 :: v_dual_mov_b32 v12, s19
	v_dual_mov_b32 v6, s29 :: v_dual_mov_b32 v7, s30
	;; [unrolled: 1-line block ×3, first 2 shown]
	v_rcp_iflag_f32_e32 v21, v13
	s_clause 0x1
	scratch_store_b128 off, v[1:4], off offset:264
	scratch_store_b128 off, v[5:8], off offset:280
	v_dual_mov_b32 v1, s48 :: v_dual_mov_b32 v4, s51
	v_mov_b32_e32 v2, s49
	scratch_store_b128 off, v[9:12], off offset:360
	v_mov_b32_e32 v3, s50
	v_dual_mov_b32 v5, s44 :: v_dual_mov_b32 v8, s47
	v_dual_mov_b32 v9, s40 :: v_dual_mov_b32 v12, s43
	;; [unrolled: 1-line block ×7, first 2 shown]
	s_load_b256 s[24:31], s[0:1], 0x1b0
	v_dual_mov_b32 v18, s57 :: v_dual_mov_b32 v19, s58
	s_clause 0x1
	scratch_store_b128 off, v[1:4], off offset:344
	scratch_store_b128 off, v[5:8], off offset:328
	v_dual_mov_b32 v1, s52 :: v_dual_mov_b32 v2, s53
	s_clause 0x2
	scratch_store_b128 off, v[9:12], off offset:312
	scratch_store_b128 off, v[13:16], off offset:296
	;; [unrolled: 1-line block ×3, first 2 shown]
	v_dual_mul_f32 v17, 0x4f7ffffe, v21 :: v_dual_mov_b32 v4, s55
	s_load_b128 s[16:19], s[0:1], 0x250
	s_sub_i32 s15, 0, s13
	v_mov_b32_e32 v3, s54
	s_delay_alu instid0(VALU_DEP_2) | instskip(SKIP_3) | instid1(VALU_DEP_3)
	v_cvt_u32_f32_e32 v17, v17
	v_mov_b32_e32 v13, s20
	s_abs_i32 s33, s12
	v_dual_mov_b32 v14, s21 :: v_dual_mov_b32 v15, s22
	v_readfirstlane_b32 s14, v17
	v_mov_b32_e32 v16, s23
	s_load_b256 s[36:43], s[0:1], 0x230
	s_waitcnt lgkmcnt(0)
	v_dual_mov_b32 v5, s28 :: v_dual_mov_b32 v6, s29
	s_mul_i32 s15, s15, s14
	v_mov_b32_e32 v7, s30
	s_mul_hi_u32 s15, s14, s15
	v_dual_mov_b32 v8, s31 :: v_dual_mov_b32 v9, s24
	v_dual_mov_b32 v10, s25 :: v_dual_mov_b32 v11, s26
	v_mov_b32_e32 v12, s27
	s_add_i32 s14, s14, s15
	s_clause 0x3
	scratch_store_b128 off, v[1:4], off offset:424
	scratch_store_b128 off, v[5:8], off offset:408
	;; [unrolled: 1-line block ×4, first 2 shown]
	s_mul_hi_u32 s14, s33, s14
	v_dual_mov_b32 v1, s16 :: v_dual_mov_b32 v2, s17
	v_dual_mov_b32 v3, s18 :: v_dual_mov_b32 v4, s19
	s_clause 0x2
	s_load_b256 s[24:31], s[0:1], 0x1f0
	s_load_b256 s[44:51], s[0:1], 0x210
	s_load_b256 s[16:23], s[0:1], 0x260
	s_mul_i32 s15, s14, s13
	s_xor_b32 s2, s12, s2
	s_sub_i32 s15, s33, s15
	s_ashr_i32 s2, s2, 31
	s_add_i32 s33, s14, 1
	s_sub_i32 s34, s15, s13
	s_cmp_ge_u32 s15, s13
	scratch_store_b128 off, v[1:4], off offset:552
	s_cselect_b32 s14, s33, s14
	s_cselect_b32 s15, s34, s15
	s_add_i32 s33, s14, 1
	s_cmp_ge_u32 s15, s13
	s_mov_b32 s15, 0
	s_cselect_b32 s13, s33, s14
	v_mov_b32_e32 v1, s40
	s_xor_b32 s13, s13, s2
	v_mov_b32_e32 v2, s41
	s_sub_i32 s2, s13, s2
	s_waitcnt lgkmcnt(0)
	v_mov_b32_e32 v9, s28
	s_ashr_i32 s13, s2, 31
	v_mov_b32_e32 v13, s24
	v_dual_mov_b32 v11, s30 :: v_dual_mov_b32 v16, s27
	v_dual_mov_b32 v14, s25 :: v_dual_mov_b32 v15, s26
	s_mul_i32 s14, s16, s13
	s_mul_hi_u32 s24, s16, s2
	s_mul_i32 s17, s17, s2
	s_add_i32 s14, s24, s14
	s_mul_i32 s24, s18, s13
	s_mul_hi_u32 s25, s18, s2
	s_add_i32 s26, s14, s17
	s_add_i32 s17, s25, s24
	s_mul_i32 s19, s19, s2
	s_mul_i32 s14, s16, s2
	s_add_i32 s24, s17, s19
	s_mul_i32 s16, s22, s13
	s_mul_i32 s13, s20, s13
	s_mul_hi_u32 s17, s20, s2
	s_mul_hi_u32 s19, s22, s2
	s_add_i32 s13, s17, s13
	s_mul_i32 s17, s21, s2
	s_add_i32 s19, s19, s16
	s_add_i32 s17, s13, s17
	s_mul_i32 s16, s20, s2
	s_mul_i32 s13, s23, s2
	s_lshl_b64 s[16:17], s[16:17], 2
	s_add_i32 s13, s19, s13
	s_add_u32 s20, s8, s16
	s_addc_u32 s21, s9, s17
	s_lshl_b32 s9, s26, 2
	s_mov_b32 s8, s15
	s_lshl_b64 s[16:17], s[14:15], 2
	s_mul_i32 s18, s18, s2
	s_or_b64 s[8:9], s[8:9], s[16:17]
	s_mov_b32 s19, s15
	s_add_u32 s14, s4, s8
	s_addc_u32 s23, s5, s9
	s_lshl_b32 s5, s24, 2
	s_mov_b32 s4, s15
	s_lshl_b64 s[8:9], s[18:19], 2
	v_dual_mov_b32 v3, s42 :: v_dual_mov_b32 v4, s43
	v_dual_mov_b32 v5, s36 :: v_dual_mov_b32 v6, s37
	;; [unrolled: 1-line block ×3, first 2 shown]
	s_or_b64 s[4:5], s[4:5], s[8:9]
	s_mul_i32 s16, s22, s2
	s_mov_b32 s17, s15
	s_add_u32 s2, s6, s4
	s_addc_u32 s18, s7, s5
	s_lshl_b32 s5, s13, 2
	s_mov_b32 s4, s15
	s_lshl_b64 s[6:7], s[16:17], 2
	s_clause 0x1
	scratch_store_b128 off, v[1:4], off offset:536
	scratch_store_b128 off, v[5:8], off offset:520
	v_mov_b32_e32 v1, s48
	v_dual_mov_b32 v5, s44 :: v_dual_mov_b32 v10, s29
	v_dual_mov_b32 v2, s49 :: v_dual_mov_b32 v3, s50
	v_mov_b32_e32 v8, s47
	v_dual_mov_b32 v4, s51 :: v_dual_mov_b32 v7, s46
	v_mov_b32_e32 v12, s31
	s_or_b64 s[4:5], s[4:5], s[6:7]
	v_mov_b32_e32 v6, s45
	s_add_u32 s4, s10, s4
	s_addc_u32 s5, s11, s5
	s_clause 0x1
	scratch_store_b128 off, v[1:4], off offset:504
	scratch_store_b128 off, v[5:8], off offset:488
	v_dual_mov_b32 v31, v0 :: v_dual_mov_b32 v4, s20
	v_dual_mov_b32 v0, s14 :: v_dual_mov_b32 v1, s23
	v_mov_b32_e32 v6, s4
	v_mov_b32_e32 v2, s2
	s_clause 0x1
	scratch_store_b128 off, v[9:12], off offset:472
	scratch_store_b128 off, v[13:16], off offset:456
	v_dual_mov_b32 v3, s18 :: v_dual_mov_b32 v8, 0
	v_dual_mov_b32 v5, s21 :: v_dual_mov_b32 v10, 0xc8
	;; [unrolled: 1-line block ×5, first 2 shown]
	v_mov_b32_e32 v13, s3
	v_mov_b32_e32 v15, s3
	v_mov_b32_e32 v17, s3
	s_add_u32 s8, s0, 0x288
	s_addc_u32 s9, s1, 0
	s_getpc_b64 s[0:1]
	s_add_u32 s0, s0, _ZN2ck32GridwiseGemmDlMultipleD_km_kn_mnILi256EffNS_5TupleIJfEEEfNS_16tensor_operation12element_wise11PassThroughES5_NS4_7AddReluELNS_25InMemoryDataOperationEnumE0ENS_16TensorDescriptorINS1_IJNS_5EmbedINS1_IJiiiEEESA_Lb0EEENS_11PassThroughIiEENS_3PadIiiiLb0EEESD_SD_NS9_INS1_IJiiEEESG_Lb0EEESD_NS_23Merge_v2_magic_divisionISG_EESJ_NS_8RightPadIiiLb0EEESL_NS_7UnMergeISG_Lb0EEESD_EEENS1_IJNS_8SequenceIJLi0EEEENSP_IJLi1EEEENSP_IJLi2EEEENSP_IJLi3EEEENSP_IJLi4EEEENSP_IJLi5EEEENSP_IJLi6EEEENSP_IJLi7ELi9EEEENSP_IJLi8ELi10EEEENSP_IJLi11EEEENSP_IJLi12EEEENSP_IJLi14EEEENSP_IJLi13EEEEEEENS1_IJNSP_IJLi1ELi2ELi3EEEESU_SV_SW_NSP_IJLi7EEEENSP_IJLi8ELi9EEEENSP_IJLi10EEEESZ_S10_S12_S11_NSP_IJLi15ELi16EEEENSP_IJLi17EEEEEEENSP_IJLi15ELi17ELi16EEEElEENS8_INS1_IJSN_SL_SL_SN_SD_EEENS1_IJSQ_SR_SS_SU_ST_EEENS1_IJNSP_IJLi1ELi2EEEEST_SU_NSP_IJLi5ELi6EEEES15_EEENSP_IJLi5ELi7ELi6EEEElEENS8_INS1_IJSH_SL_SL_EEENS1_IJSQ_SR_SS_EEENS1_IJS1F_ST_SU_EEENSP_IJLi3ELi4EEEElEELi128ELi128ELi16ELi1ELi4ELi4ELi1ENSP_IJLi8ELi2EEEES1P_NSP_IJLi8ELi1ELi1ELi1EEEENSP_IJLi2ELi1ELi128ELi1EEEENSP_IJLi1ELi2ELi0ELi3EEEES1S_NSP_IJLi4ELi1ELi1ELi1EEEES1S_NSP_IJLi1ELi1ELi1ELi1EEEES1Q_S1R_S1S_S1S_S1T_S1S_S1U_NSP_IJLi0ELi1ELi2ELi3ELi4ELi5EEEELi5ELi4EE3RunINS1_IJNS8_INS1_IJSH_SL_SL_NSM_INS1_IJiNS_17integral_constantIiLi2EEENS1Y_IiLi64EEEEEELb0EEES22_EEENS1_IJSQ_SR_SS_ST_SU_EEENS1_IJS1F_ST_SU_NSP_IJLi5ELi6ELi7EEEENSP_IJLi8ELi9ELi10EEEEEEENSP_IJLi5ELi6ELi7ELi8ELi9ELi10EEEElEEEEELb1ELb1ENS_31BlockToCTileMap_M00_N00_M01_N01ILi128ELi128ES1O_Lb0EEEEEvPKfS2E_NS1_IJS2E_EEEPfPvRKS5_S2J_RKS6_RKNS8_INS1_IJSB_SD_SF_SD_SD_SH_SD_SJ_SJ_SL_SL_SN_SD_SD_NSM_INS1_IJiNS1Y_IiLi128EEEEEELb0EEENSC_INS1Y_IiLi1EEEEEEEENS1_IJSQ_SR_SS_ST_SU_SV_SW_SX_SY_SZ_S10_S11_S12_NSP_IJLi15EEEES19_NSP_IJLi16EEEEEEENS1_IJS14_SU_SV_SW_S15_S16_S17_SZ_S10_S12_S11_S18_S19_NSP_IJLi18EEEENSP_IJLi19ELi20EEEENSP_IJLi21EEEEEEENSP_IJLi18ELi19ELi20ELi21EEEElEERKNS8_INS1_IJSN_SL_SL_SN_SD_SD_S2O_S2Q_EEENS1_IJSQ_SR_SS_SU_ST_SV_S15_SW_EEENS1_IJS1F_ST_SU_S1G_S15_NSP_IJLi8EEEENSP_IJLi9ELi10EEEESZ_EEENSP_IJLi8ELi9ELi10ELi11EEEElEERKT_RKS29_RKT2_NS1Y_IbXT0_EEENS1Y_IbXT1_EEE@rel32@lo+4
	s_addc_u32 s1, s1, _ZN2ck32GridwiseGemmDlMultipleD_km_kn_mnILi256EffNS_5TupleIJfEEEfNS_16tensor_operation12element_wise11PassThroughES5_NS4_7AddReluELNS_25InMemoryDataOperationEnumE0ENS_16TensorDescriptorINS1_IJNS_5EmbedINS1_IJiiiEEESA_Lb0EEENS_11PassThroughIiEENS_3PadIiiiLb0EEESD_SD_NS9_INS1_IJiiEEESG_Lb0EEESD_NS_23Merge_v2_magic_divisionISG_EESJ_NS_8RightPadIiiLb0EEESL_NS_7UnMergeISG_Lb0EEESD_EEENS1_IJNS_8SequenceIJLi0EEEENSP_IJLi1EEEENSP_IJLi2EEEENSP_IJLi3EEEENSP_IJLi4EEEENSP_IJLi5EEEENSP_IJLi6EEEENSP_IJLi7ELi9EEEENSP_IJLi8ELi10EEEENSP_IJLi11EEEENSP_IJLi12EEEENSP_IJLi14EEEENSP_IJLi13EEEEEEENS1_IJNSP_IJLi1ELi2ELi3EEEESU_SV_SW_NSP_IJLi7EEEENSP_IJLi8ELi9EEEENSP_IJLi10EEEESZ_S10_S12_S11_NSP_IJLi15ELi16EEEENSP_IJLi17EEEEEEENSP_IJLi15ELi17ELi16EEEElEENS8_INS1_IJSN_SL_SL_SN_SD_EEENS1_IJSQ_SR_SS_SU_ST_EEENS1_IJNSP_IJLi1ELi2EEEEST_SU_NSP_IJLi5ELi6EEEES15_EEENSP_IJLi5ELi7ELi6EEEElEENS8_INS1_IJSH_SL_SL_EEENS1_IJSQ_SR_SS_EEENS1_IJS1F_ST_SU_EEENSP_IJLi3ELi4EEEElEELi128ELi128ELi16ELi1ELi4ELi4ELi1ENSP_IJLi8ELi2EEEES1P_NSP_IJLi8ELi1ELi1ELi1EEEENSP_IJLi2ELi1ELi128ELi1EEEENSP_IJLi1ELi2ELi0ELi3EEEES1S_NSP_IJLi4ELi1ELi1ELi1EEEES1S_NSP_IJLi1ELi1ELi1ELi1EEEES1Q_S1R_S1S_S1S_S1T_S1S_S1U_NSP_IJLi0ELi1ELi2ELi3ELi4ELi5EEEELi5ELi4EE3RunINS1_IJNS8_INS1_IJSH_SL_SL_NSM_INS1_IJiNS_17integral_constantIiLi2EEENS1Y_IiLi64EEEEEELb0EEES22_EEENS1_IJSQ_SR_SS_ST_SU_EEENS1_IJS1F_ST_SU_NSP_IJLi5ELi6ELi7EEEENSP_IJLi8ELi9ELi10EEEEEEENSP_IJLi5ELi6ELi7ELi8ELi9ELi10EEEElEEEEELb1ELb1ENS_31BlockToCTileMap_M00_N00_M01_N01ILi128ELi128ES1O_Lb0EEEEEvPKfS2E_NS1_IJS2E_EEEPfPvRKS5_S2J_RKS6_RKNS8_INS1_IJSB_SD_SF_SD_SD_SH_SD_SJ_SJ_SL_SL_SN_SD_SD_NSM_INS1_IJiNS1Y_IiLi128EEEEEELb0EEENSC_INS1Y_IiLi1EEEEEEEENS1_IJSQ_SR_SS_ST_SU_SV_SW_SX_SY_SZ_S10_S11_S12_NSP_IJLi15EEEES19_NSP_IJLi16EEEEEEENS1_IJS14_SU_SV_SW_S15_S16_S17_SZ_S10_S12_S11_S18_S19_NSP_IJLi18EEEENSP_IJLi19ELi20EEEENSP_IJLi21EEEEEEENSP_IJLi18ELi19ELi20ELi21EEEElEERKNS8_INS1_IJSN_SL_SL_SN_SD_SD_S2O_S2Q_EEENS1_IJSQ_SR_SS_SU_ST_SV_S15_SW_EEENS1_IJS1F_ST_SU_S1G_S15_NSP_IJLi8EEEENSP_IJLi9ELi10EEEESZ_EEENSP_IJLi8ELi9ELi10ELi11EEEElEERKT_RKS29_RKT2_NS1Y_IbXT0_EEENS1Y_IbXT1_EEE@rel32@hi+12
	s_delay_alu instid0(SALU_CYCLE_1)
	s_swappc_b64 s[30:31], s[0:1]
	s_endpgm
	.section	.rodata,"a",@progbits
	.p2align	6, 0x0
	.amdhsa_kernel _ZN2ck16tensor_operation6device12_GLOBAL__N_137kernel_grouped_conv_fwd_dl_multiple_dINS_32GridwiseGemmDlMultipleD_km_kn_mnILi256EffNS_5TupleIJfEEEfNS0_12element_wise11PassThroughES8_NS7_7AddReluELNS_25InMemoryDataOperationEnumE0ENS_16TensorDescriptorINS5_IJNS_5EmbedINS5_IJiiiEEESD_Lb0EEENS_11PassThroughIiEENS_3PadIiiiLb0EEESG_SG_NSC_INS5_IJiiEEESJ_Lb0EEESG_NS_23Merge_v2_magic_divisionISJ_EESM_NS_8RightPadIiiLb0EEESO_NS_7UnMergeISJ_Lb0EEESG_EEENS5_IJNS_8SequenceIJLi0EEEENSS_IJLi1EEEENSS_IJLi2EEEENSS_IJLi3EEEENSS_IJLi4EEEENSS_IJLi5EEEENSS_IJLi6EEEENSS_IJLi7ELi9EEEENSS_IJLi8ELi10EEEENSS_IJLi11EEEENSS_IJLi12EEEENSS_IJLi14EEEENSS_IJLi13EEEEEEENS5_IJNSS_IJLi1ELi2ELi3EEEESX_SY_SZ_NSS_IJLi7EEEENSS_IJLi8ELi9EEEENSS_IJLi10EEEES12_S13_S15_S14_NSS_IJLi15ELi16EEEENSS_IJLi17EEEEEEENSS_IJLi15ELi17ELi16EEEElEENSB_INS5_IJSQ_SO_SO_SQ_SG_EEENS5_IJST_SU_SV_SX_SW_EEENS5_IJNSS_IJLi1ELi2EEEESW_SX_NSS_IJLi5ELi6EEEES18_EEENSS_IJLi5ELi7ELi6EEEElEENSB_INS5_IJSK_SO_SO_EEENS5_IJST_SU_SV_EEENS5_IJS1I_SW_SX_EEENSS_IJLi3ELi4EEEElEELi128ELi128ELi16ELi1ELi4ELi4ELi1ENSS_IJLi8ELi2EEEES1S_NSS_IJLi8ELi1ELi1ELi1EEEENSS_IJLi2ELi1ELi128ELi1EEEENSS_IJLi1ELi2ELi0ELi3EEEES1V_NSS_IJLi4ELi1ELi1ELi1EEEES1V_NSS_IJLi1ELi1ELi1ELi1EEEES1T_S1U_S1V_S1V_S1W_S1V_S1X_NSS_IJLi0ELi1ELi2ELi3ELi4ELi5EEEELi5ELi4EEEfNS5_IJPKfEEEfS8_S8_S9_NSB_INS5_IJSE_SG_SI_SG_SG_SK_SG_SM_SM_SO_SO_SQ_SG_SG_NSP_INS5_IJiNS_17integral_constantIiLi128EEEEEELb0EEENSF_INS23_IiLi1EEEEEEEENS5_IJST_SU_SV_SW_SX_SY_SZ_S10_S11_S12_S13_S14_S15_NSS_IJLi15EEEES1C_NSS_IJLi16EEEEEEENS5_IJS17_SX_SY_SZ_S18_S19_S1A_S12_S13_S15_S14_S1B_S1C_NSS_IJLi18EEEENSS_IJLi19ELi20EEEENSS_IJLi21EEEEEEENSS_IJLi18ELi19ELi20ELi21EEEElEENSB_INS5_IJSQ_SO_SO_SQ_SG_SG_S26_S28_EEENS5_IJST_SU_SV_SX_SW_SY_S18_SZ_EEENS5_IJS1I_SW_SX_S1J_S18_NSS_IJLi8EEEENSS_IJLi9ELi10EEEES12_EEENSS_IJLi8ELi9ELi10ELi11EEEElEENS5_IJNSB_INS5_IJSK_SO_SO_NSP_INS5_IJiNS23_IiLi2EEENS23_IiLi64EEEEEELb0EEES2T_EEENS5_IJST_SU_SV_SW_SX_EEENS5_IJS1I_SW_SX_NSS_IJLi5ELi6ELi7EEEENSS_IJLi8ELi9ELi10EEEEEEENSS_IJLi5ELi6ELi7ELi8ELi9ELi10EEEElEEEEES30_NS_31BlockToCTileMap_M00_N00_M01_N01ILi128ELi128ES1R_Lb0EEENS1_30ComputePtrOffsetOfStridedBatchILi1ELi1ELi1EvEELb1ELb1EEEvPKT0_S38_T1_PT2_T3_T4_T5_iT6_T7_T8_T9_T10_T11_
		.amdhsa_group_segment_fixed_size 32768
		.amdhsa_private_segment_fixed_size 576
		.amdhsa_kernarg_size 904
		.amdhsa_user_sgpr_count 15
		.amdhsa_user_sgpr_dispatch_ptr 0
		.amdhsa_user_sgpr_queue_ptr 0
		.amdhsa_user_sgpr_kernarg_segment_ptr 1
		.amdhsa_user_sgpr_dispatch_id 0
		.amdhsa_user_sgpr_private_segment_size 0
		.amdhsa_wavefront_size32 1
		.amdhsa_uses_dynamic_stack 0
		.amdhsa_enable_private_segment 1
		.amdhsa_system_sgpr_workgroup_id_x 1
		.amdhsa_system_sgpr_workgroup_id_y 0
		.amdhsa_system_sgpr_workgroup_id_z 0
		.amdhsa_system_sgpr_workgroup_info 0
		.amdhsa_system_vgpr_workitem_id 0
		.amdhsa_next_free_vgpr 242
		.amdhsa_next_free_sgpr 76
		.amdhsa_reserve_vcc 1
		.amdhsa_float_round_mode_32 0
		.amdhsa_float_round_mode_16_64 0
		.amdhsa_float_denorm_mode_32 3
		.amdhsa_float_denorm_mode_16_64 3
		.amdhsa_dx10_clamp 1
		.amdhsa_ieee_mode 1
		.amdhsa_fp16_overflow 0
		.amdhsa_workgroup_processor_mode 1
		.amdhsa_memory_ordered 1
		.amdhsa_forward_progress 0
		.amdhsa_shared_vgpr_count 0
		.amdhsa_exception_fp_ieee_invalid_op 0
		.amdhsa_exception_fp_denorm_src 0
		.amdhsa_exception_fp_ieee_div_zero 0
		.amdhsa_exception_fp_ieee_overflow 0
		.amdhsa_exception_fp_ieee_underflow 0
		.amdhsa_exception_fp_ieee_inexact 0
		.amdhsa_exception_int_div_zero 0
	.end_amdhsa_kernel
	.section	.text._ZN2ck16tensor_operation6device12_GLOBAL__N_137kernel_grouped_conv_fwd_dl_multiple_dINS_32GridwiseGemmDlMultipleD_km_kn_mnILi256EffNS_5TupleIJfEEEfNS0_12element_wise11PassThroughES8_NS7_7AddReluELNS_25InMemoryDataOperationEnumE0ENS_16TensorDescriptorINS5_IJNS_5EmbedINS5_IJiiiEEESD_Lb0EEENS_11PassThroughIiEENS_3PadIiiiLb0EEESG_SG_NSC_INS5_IJiiEEESJ_Lb0EEESG_NS_23Merge_v2_magic_divisionISJ_EESM_NS_8RightPadIiiLb0EEESO_NS_7UnMergeISJ_Lb0EEESG_EEENS5_IJNS_8SequenceIJLi0EEEENSS_IJLi1EEEENSS_IJLi2EEEENSS_IJLi3EEEENSS_IJLi4EEEENSS_IJLi5EEEENSS_IJLi6EEEENSS_IJLi7ELi9EEEENSS_IJLi8ELi10EEEENSS_IJLi11EEEENSS_IJLi12EEEENSS_IJLi14EEEENSS_IJLi13EEEEEEENS5_IJNSS_IJLi1ELi2ELi3EEEESX_SY_SZ_NSS_IJLi7EEEENSS_IJLi8ELi9EEEENSS_IJLi10EEEES12_S13_S15_S14_NSS_IJLi15ELi16EEEENSS_IJLi17EEEEEEENSS_IJLi15ELi17ELi16EEEElEENSB_INS5_IJSQ_SO_SO_SQ_SG_EEENS5_IJST_SU_SV_SX_SW_EEENS5_IJNSS_IJLi1ELi2EEEESW_SX_NSS_IJLi5ELi6EEEES18_EEENSS_IJLi5ELi7ELi6EEEElEENSB_INS5_IJSK_SO_SO_EEENS5_IJST_SU_SV_EEENS5_IJS1I_SW_SX_EEENSS_IJLi3ELi4EEEElEELi128ELi128ELi16ELi1ELi4ELi4ELi1ENSS_IJLi8ELi2EEEES1S_NSS_IJLi8ELi1ELi1ELi1EEEENSS_IJLi2ELi1ELi128ELi1EEEENSS_IJLi1ELi2ELi0ELi3EEEES1V_NSS_IJLi4ELi1ELi1ELi1EEEES1V_NSS_IJLi1ELi1ELi1ELi1EEEES1T_S1U_S1V_S1V_S1W_S1V_S1X_NSS_IJLi0ELi1ELi2ELi3ELi4ELi5EEEELi5ELi4EEEfNS5_IJPKfEEEfS8_S8_S9_NSB_INS5_IJSE_SG_SI_SG_SG_SK_SG_SM_SM_SO_SO_SQ_SG_SG_NSP_INS5_IJiNS_17integral_constantIiLi128EEEEEELb0EEENSF_INS23_IiLi1EEEEEEEENS5_IJST_SU_SV_SW_SX_SY_SZ_S10_S11_S12_S13_S14_S15_NSS_IJLi15EEEES1C_NSS_IJLi16EEEEEEENS5_IJS17_SX_SY_SZ_S18_S19_S1A_S12_S13_S15_S14_S1B_S1C_NSS_IJLi18EEEENSS_IJLi19ELi20EEEENSS_IJLi21EEEEEEENSS_IJLi18ELi19ELi20ELi21EEEElEENSB_INS5_IJSQ_SO_SO_SQ_SG_SG_S26_S28_EEENS5_IJST_SU_SV_SX_SW_SY_S18_SZ_EEENS5_IJS1I_SW_SX_S1J_S18_NSS_IJLi8EEEENSS_IJLi9ELi10EEEES12_EEENSS_IJLi8ELi9ELi10ELi11EEEElEENS5_IJNSB_INS5_IJSK_SO_SO_NSP_INS5_IJiNS23_IiLi2EEENS23_IiLi64EEEEEELb0EEES2T_EEENS5_IJST_SU_SV_SW_SX_EEENS5_IJS1I_SW_SX_NSS_IJLi5ELi6ELi7EEEENSS_IJLi8ELi9ELi10EEEEEEENSS_IJLi5ELi6ELi7ELi8ELi9ELi10EEEElEEEEES30_NS_31BlockToCTileMap_M00_N00_M01_N01ILi128ELi128ES1R_Lb0EEENS1_30ComputePtrOffsetOfStridedBatchILi1ELi1ELi1EvEELb1ELb1EEEvPKT0_S38_T1_PT2_T3_T4_T5_iT6_T7_T8_T9_T10_T11_,"axG",@progbits,_ZN2ck16tensor_operation6device12_GLOBAL__N_137kernel_grouped_conv_fwd_dl_multiple_dINS_32GridwiseGemmDlMultipleD_km_kn_mnILi256EffNS_5TupleIJfEEEfNS0_12element_wise11PassThroughES8_NS7_7AddReluELNS_25InMemoryDataOperationEnumE0ENS_16TensorDescriptorINS5_IJNS_5EmbedINS5_IJiiiEEESD_Lb0EEENS_11PassThroughIiEENS_3PadIiiiLb0EEESG_SG_NSC_INS5_IJiiEEESJ_Lb0EEESG_NS_23Merge_v2_magic_divisionISJ_EESM_NS_8RightPadIiiLb0EEESO_NS_7UnMergeISJ_Lb0EEESG_EEENS5_IJNS_8SequenceIJLi0EEEENSS_IJLi1EEEENSS_IJLi2EEEENSS_IJLi3EEEENSS_IJLi4EEEENSS_IJLi5EEEENSS_IJLi6EEEENSS_IJLi7ELi9EEEENSS_IJLi8ELi10EEEENSS_IJLi11EEEENSS_IJLi12EEEENSS_IJLi14EEEENSS_IJLi13EEEEEEENS5_IJNSS_IJLi1ELi2ELi3EEEESX_SY_SZ_NSS_IJLi7EEEENSS_IJLi8ELi9EEEENSS_IJLi10EEEES12_S13_S15_S14_NSS_IJLi15ELi16EEEENSS_IJLi17EEEEEEENSS_IJLi15ELi17ELi16EEEElEENSB_INS5_IJSQ_SO_SO_SQ_SG_EEENS5_IJST_SU_SV_SX_SW_EEENS5_IJNSS_IJLi1ELi2EEEESW_SX_NSS_IJLi5ELi6EEEES18_EEENSS_IJLi5ELi7ELi6EEEElEENSB_INS5_IJSK_SO_SO_EEENS5_IJST_SU_SV_EEENS5_IJS1I_SW_SX_EEENSS_IJLi3ELi4EEEElEELi128ELi128ELi16ELi1ELi4ELi4ELi1ENSS_IJLi8ELi2EEEES1S_NSS_IJLi8ELi1ELi1ELi1EEEENSS_IJLi2ELi1ELi128ELi1EEEENSS_IJLi1ELi2ELi0ELi3EEEES1V_NSS_IJLi4ELi1ELi1ELi1EEEES1V_NSS_IJLi1ELi1ELi1ELi1EEEES1T_S1U_S1V_S1V_S1W_S1V_S1X_NSS_IJLi0ELi1ELi2ELi3ELi4ELi5EEEELi5ELi4EEEfNS5_IJPKfEEEfS8_S8_S9_NSB_INS5_IJSE_SG_SI_SG_SG_SK_SG_SM_SM_SO_SO_SQ_SG_SG_NSP_INS5_IJiNS_17integral_constantIiLi128EEEEEELb0EEENSF_INS23_IiLi1EEEEEEEENS5_IJST_SU_SV_SW_SX_SY_SZ_S10_S11_S12_S13_S14_S15_NSS_IJLi15EEEES1C_NSS_IJLi16EEEEEEENS5_IJS17_SX_SY_SZ_S18_S19_S1A_S12_S13_S15_S14_S1B_S1C_NSS_IJLi18EEEENSS_IJLi19ELi20EEEENSS_IJLi21EEEEEEENSS_IJLi18ELi19ELi20ELi21EEEElEENSB_INS5_IJSQ_SO_SO_SQ_SG_SG_S26_S28_EEENS5_IJST_SU_SV_SX_SW_SY_S18_SZ_EEENS5_IJS1I_SW_SX_S1J_S18_NSS_IJLi8EEEENSS_IJLi9ELi10EEEES12_EEENSS_IJLi8ELi9ELi10ELi11EEEElEENS5_IJNSB_INS5_IJSK_SO_SO_NSP_INS5_IJiNS23_IiLi2EEENS23_IiLi64EEEEEELb0EEES2T_EEENS5_IJST_SU_SV_SW_SX_EEENS5_IJS1I_SW_SX_NSS_IJLi5ELi6ELi7EEEENSS_IJLi8ELi9ELi10EEEEEEENSS_IJLi5ELi6ELi7ELi8ELi9ELi10EEEElEEEEES30_NS_31BlockToCTileMap_M00_N00_M01_N01ILi128ELi128ES1R_Lb0EEENS1_30ComputePtrOffsetOfStridedBatchILi1ELi1ELi1EvEELb1ELb1EEEvPKT0_S38_T1_PT2_T3_T4_T5_iT6_T7_T8_T9_T10_T11_,comdat
.Lfunc_end2:
	.size	_ZN2ck16tensor_operation6device12_GLOBAL__N_137kernel_grouped_conv_fwd_dl_multiple_dINS_32GridwiseGemmDlMultipleD_km_kn_mnILi256EffNS_5TupleIJfEEEfNS0_12element_wise11PassThroughES8_NS7_7AddReluELNS_25InMemoryDataOperationEnumE0ENS_16TensorDescriptorINS5_IJNS_5EmbedINS5_IJiiiEEESD_Lb0EEENS_11PassThroughIiEENS_3PadIiiiLb0EEESG_SG_NSC_INS5_IJiiEEESJ_Lb0EEESG_NS_23Merge_v2_magic_divisionISJ_EESM_NS_8RightPadIiiLb0EEESO_NS_7UnMergeISJ_Lb0EEESG_EEENS5_IJNS_8SequenceIJLi0EEEENSS_IJLi1EEEENSS_IJLi2EEEENSS_IJLi3EEEENSS_IJLi4EEEENSS_IJLi5EEEENSS_IJLi6EEEENSS_IJLi7ELi9EEEENSS_IJLi8ELi10EEEENSS_IJLi11EEEENSS_IJLi12EEEENSS_IJLi14EEEENSS_IJLi13EEEEEEENS5_IJNSS_IJLi1ELi2ELi3EEEESX_SY_SZ_NSS_IJLi7EEEENSS_IJLi8ELi9EEEENSS_IJLi10EEEES12_S13_S15_S14_NSS_IJLi15ELi16EEEENSS_IJLi17EEEEEEENSS_IJLi15ELi17ELi16EEEElEENSB_INS5_IJSQ_SO_SO_SQ_SG_EEENS5_IJST_SU_SV_SX_SW_EEENS5_IJNSS_IJLi1ELi2EEEESW_SX_NSS_IJLi5ELi6EEEES18_EEENSS_IJLi5ELi7ELi6EEEElEENSB_INS5_IJSK_SO_SO_EEENS5_IJST_SU_SV_EEENS5_IJS1I_SW_SX_EEENSS_IJLi3ELi4EEEElEELi128ELi128ELi16ELi1ELi4ELi4ELi1ENSS_IJLi8ELi2EEEES1S_NSS_IJLi8ELi1ELi1ELi1EEEENSS_IJLi2ELi1ELi128ELi1EEEENSS_IJLi1ELi2ELi0ELi3EEEES1V_NSS_IJLi4ELi1ELi1ELi1EEEES1V_NSS_IJLi1ELi1ELi1ELi1EEEES1T_S1U_S1V_S1V_S1W_S1V_S1X_NSS_IJLi0ELi1ELi2ELi3ELi4ELi5EEEELi5ELi4EEEfNS5_IJPKfEEEfS8_S8_S9_NSB_INS5_IJSE_SG_SI_SG_SG_SK_SG_SM_SM_SO_SO_SQ_SG_SG_NSP_INS5_IJiNS_17integral_constantIiLi128EEEEEELb0EEENSF_INS23_IiLi1EEEEEEEENS5_IJST_SU_SV_SW_SX_SY_SZ_S10_S11_S12_S13_S14_S15_NSS_IJLi15EEEES1C_NSS_IJLi16EEEEEEENS5_IJS17_SX_SY_SZ_S18_S19_S1A_S12_S13_S15_S14_S1B_S1C_NSS_IJLi18EEEENSS_IJLi19ELi20EEEENSS_IJLi21EEEEEEENSS_IJLi18ELi19ELi20ELi21EEEElEENSB_INS5_IJSQ_SO_SO_SQ_SG_SG_S26_S28_EEENS5_IJST_SU_SV_SX_SW_SY_S18_SZ_EEENS5_IJS1I_SW_SX_S1J_S18_NSS_IJLi8EEEENSS_IJLi9ELi10EEEES12_EEENSS_IJLi8ELi9ELi10ELi11EEEElEENS5_IJNSB_INS5_IJSK_SO_SO_NSP_INS5_IJiNS23_IiLi2EEENS23_IiLi64EEEEEELb0EEES2T_EEENS5_IJST_SU_SV_SW_SX_EEENS5_IJS1I_SW_SX_NSS_IJLi5ELi6ELi7EEEENSS_IJLi8ELi9ELi10EEEEEEENSS_IJLi5ELi6ELi7ELi8ELi9ELi10EEEElEEEEES30_NS_31BlockToCTileMap_M00_N00_M01_N01ILi128ELi128ES1R_Lb0EEENS1_30ComputePtrOffsetOfStridedBatchILi1ELi1ELi1EvEELb1ELb1EEEvPKT0_S38_T1_PT2_T3_T4_T5_iT6_T7_T8_T9_T10_T11_, .Lfunc_end2-_ZN2ck16tensor_operation6device12_GLOBAL__N_137kernel_grouped_conv_fwd_dl_multiple_dINS_32GridwiseGemmDlMultipleD_km_kn_mnILi256EffNS_5TupleIJfEEEfNS0_12element_wise11PassThroughES8_NS7_7AddReluELNS_25InMemoryDataOperationEnumE0ENS_16TensorDescriptorINS5_IJNS_5EmbedINS5_IJiiiEEESD_Lb0EEENS_11PassThroughIiEENS_3PadIiiiLb0EEESG_SG_NSC_INS5_IJiiEEESJ_Lb0EEESG_NS_23Merge_v2_magic_divisionISJ_EESM_NS_8RightPadIiiLb0EEESO_NS_7UnMergeISJ_Lb0EEESG_EEENS5_IJNS_8SequenceIJLi0EEEENSS_IJLi1EEEENSS_IJLi2EEEENSS_IJLi3EEEENSS_IJLi4EEEENSS_IJLi5EEEENSS_IJLi6EEEENSS_IJLi7ELi9EEEENSS_IJLi8ELi10EEEENSS_IJLi11EEEENSS_IJLi12EEEENSS_IJLi14EEEENSS_IJLi13EEEEEEENS5_IJNSS_IJLi1ELi2ELi3EEEESX_SY_SZ_NSS_IJLi7EEEENSS_IJLi8ELi9EEEENSS_IJLi10EEEES12_S13_S15_S14_NSS_IJLi15ELi16EEEENSS_IJLi17EEEEEEENSS_IJLi15ELi17ELi16EEEElEENSB_INS5_IJSQ_SO_SO_SQ_SG_EEENS5_IJST_SU_SV_SX_SW_EEENS5_IJNSS_IJLi1ELi2EEEESW_SX_NSS_IJLi5ELi6EEEES18_EEENSS_IJLi5ELi7ELi6EEEElEENSB_INS5_IJSK_SO_SO_EEENS5_IJST_SU_SV_EEENS5_IJS1I_SW_SX_EEENSS_IJLi3ELi4EEEElEELi128ELi128ELi16ELi1ELi4ELi4ELi1ENSS_IJLi8ELi2EEEES1S_NSS_IJLi8ELi1ELi1ELi1EEEENSS_IJLi2ELi1ELi128ELi1EEEENSS_IJLi1ELi2ELi0ELi3EEEES1V_NSS_IJLi4ELi1ELi1ELi1EEEES1V_NSS_IJLi1ELi1ELi1ELi1EEEES1T_S1U_S1V_S1V_S1W_S1V_S1X_NSS_IJLi0ELi1ELi2ELi3ELi4ELi5EEEELi5ELi4EEEfNS5_IJPKfEEEfS8_S8_S9_NSB_INS5_IJSE_SG_SI_SG_SG_SK_SG_SM_SM_SO_SO_SQ_SG_SG_NSP_INS5_IJiNS_17integral_constantIiLi128EEEEEELb0EEENSF_INS23_IiLi1EEEEEEEENS5_IJST_SU_SV_SW_SX_SY_SZ_S10_S11_S12_S13_S14_S15_NSS_IJLi15EEEES1C_NSS_IJLi16EEEEEEENS5_IJS17_SX_SY_SZ_S18_S19_S1A_S12_S13_S15_S14_S1B_S1C_NSS_IJLi18EEEENSS_IJLi19ELi20EEEENSS_IJLi21EEEEEEENSS_IJLi18ELi19ELi20ELi21EEEElEENSB_INS5_IJSQ_SO_SO_SQ_SG_SG_S26_S28_EEENS5_IJST_SU_SV_SX_SW_SY_S18_SZ_EEENS5_IJS1I_SW_SX_S1J_S18_NSS_IJLi8EEEENSS_IJLi9ELi10EEEES12_EEENSS_IJLi8ELi9ELi10ELi11EEEElEENS5_IJNSB_INS5_IJSK_SO_SO_NSP_INS5_IJiNS23_IiLi2EEENS23_IiLi64EEEEEELb0EEES2T_EEENS5_IJST_SU_SV_SW_SX_EEENS5_IJS1I_SW_SX_NSS_IJLi5ELi6ELi7EEEENSS_IJLi8ELi9ELi10EEEEEEENSS_IJLi5ELi6ELi7ELi8ELi9ELi10EEEElEEEEES30_NS_31BlockToCTileMap_M00_N00_M01_N01ILi128ELi128ES1R_Lb0EEENS1_30ComputePtrOffsetOfStridedBatchILi1ELi1ELi1EvEELb1ELb1EEEvPKT0_S38_T1_PT2_T3_T4_T5_iT6_T7_T8_T9_T10_T11_
                                        ; -- End function
	.section	.AMDGPU.csdata,"",@progbits
; Kernel info:
; codeLenInByte = 1688
; NumSgprs: 78
; NumVgprs: 242
; ScratchSize: 576
; MemoryBound: 0
; FloatMode: 240
; IeeeMode: 1
; LDSByteSize: 32768 bytes/workgroup (compile time only)
; SGPRBlocks: 9
; VGPRBlocks: 30
; NumSGPRsForWavesPerEU: 78
; NumVGPRsForWavesPerEU: 242
; Occupancy: 5
; WaveLimiterHint : 1
; COMPUTE_PGM_RSRC2:SCRATCH_EN: 1
; COMPUTE_PGM_RSRC2:USER_SGPR: 15
; COMPUTE_PGM_RSRC2:TRAP_HANDLER: 0
; COMPUTE_PGM_RSRC2:TGID_X_EN: 1
; COMPUTE_PGM_RSRC2:TGID_Y_EN: 0
; COMPUTE_PGM_RSRC2:TGID_Z_EN: 0
; COMPUTE_PGM_RSRC2:TIDIG_COMP_CNT: 0
	.text
	.p2align	2                               ; -- Begin function _ZN2ck32GridwiseGemmDlMultipleD_km_kn_mnILi256EffNS_5TupleIJfEEEfNS_16tensor_operation12element_wise11PassThroughES5_NS4_7AddReluELNS_25InMemoryDataOperationEnumE0ENS_16TensorDescriptorINS1_IJNS_5EmbedINS1_IJiiiEEESA_Lb0EEENS_11PassThroughIiEENS_3PadIiiiLb0EEESD_SD_NS9_INS1_IJiiEEESG_Lb0EEESD_NS_23Merge_v2_magic_divisionISG_EESJ_NS_8RightPadIiiLb0EEESL_NS_7UnMergeISG_Lb0EEESD_EEENS1_IJNS_8SequenceIJLi0EEEENSP_IJLi1EEEENSP_IJLi2EEEENSP_IJLi3EEEENSP_IJLi4EEEENSP_IJLi5EEEENSP_IJLi6EEEENSP_IJLi7ELi9EEEENSP_IJLi8ELi10EEEENSP_IJLi11EEEENSP_IJLi12EEEENSP_IJLi14EEEENSP_IJLi13EEEEEEENS1_IJNSP_IJLi1ELi2ELi3EEEESU_SV_SW_NSP_IJLi7EEEENSP_IJLi8ELi9EEEENSP_IJLi10EEEESZ_S10_S12_S11_NSP_IJLi15ELi16EEEENSP_IJLi17EEEEEEENSP_IJLi15ELi17ELi16EEEElEENS8_INS1_IJSN_SL_SL_SN_SD_EEENS1_IJSQ_SR_SS_SU_ST_EEENS1_IJNSP_IJLi1ELi2EEEEST_SU_NSP_IJLi5ELi6EEEES15_EEENSP_IJLi5ELi7ELi6EEEElEENS8_INS1_IJSH_SL_SL_EEENS1_IJSQ_SR_SS_EEENS1_IJS1F_ST_SU_EEENSP_IJLi3ELi4EEEElEELi128ELi128ELi16ELi1ELi4ELi4ELi1ENSP_IJLi8ELi2EEEES1P_NSP_IJLi8ELi1ELi1ELi1EEEENSP_IJLi2ELi1ELi128ELi1EEEENSP_IJLi1ELi2ELi0ELi3EEEES1S_NSP_IJLi4ELi1ELi1ELi1EEEES1S_NSP_IJLi1ELi1ELi1ELi1EEEES1Q_S1R_S1S_S1S_S1T_S1S_S1U_NSP_IJLi0ELi1ELi2ELi3ELi4ELi5EEEELi5ELi4EE3RunINS1_IJNS8_INS1_IJSH_SL_SL_NSM_INS1_IJiNS_17integral_constantIiLi2EEENS1Y_IiLi64EEEEEELb0EEES22_EEENS1_IJSQ_SR_SS_ST_SU_EEENS1_IJS1F_ST_SU_NSP_IJLi5ELi6ELi7EEEENSP_IJLi8ELi9ELi10EEEEEEENSP_IJLi5ELi6ELi7ELi8ELi9ELi10EEEElEEEEELb1ELb0ENS_31BlockToCTileMap_M00_N00_M01_N01ILi128ELi128ES1O_Lb0EEEEEvPKfS2E_NS1_IJS2E_EEEPfPvRKS5_S2J_RKS6_RKNS8_INS1_IJSB_SD_SF_SD_SD_SH_SD_SJ_SJ_SL_SL_SN_SD_SD_NSM_INS1_IJiNS1Y_IiLi128EEEEEELb0EEENSC_INS1Y_IiLi1EEEEEEEENS1_IJSQ_SR_SS_ST_SU_SV_SW_SX_SY_SZ_S10_S11_S12_NSP_IJLi15EEEES19_NSP_IJLi16EEEEEEENS1_IJS14_SU_SV_SW_S15_S16_S17_SZ_S10_S12_S11_S18_S19_NSP_IJLi18EEEENSP_IJLi19ELi20EEEENSP_IJLi21EEEEEEENSP_IJLi18ELi19ELi20ELi21EEEElEERKNS8_INS1_IJSN_SL_SL_SN_SD_SD_S2O_S2Q_EEENS1_IJSQ_SR_SS_SU_ST_SV_S15_SW_EEENS1_IJS1F_ST_SU_S1G_S15_NSP_IJLi8EEEENSP_IJLi9ELi10EEEESZ_EEENSP_IJLi8ELi9ELi10ELi11EEEElEERKT_RKS29_RKT2_NS1Y_IbXT0_EEENS1Y_IbXT1_EEE
	.type	_ZN2ck32GridwiseGemmDlMultipleD_km_kn_mnILi256EffNS_5TupleIJfEEEfNS_16tensor_operation12element_wise11PassThroughES5_NS4_7AddReluELNS_25InMemoryDataOperationEnumE0ENS_16TensorDescriptorINS1_IJNS_5EmbedINS1_IJiiiEEESA_Lb0EEENS_11PassThroughIiEENS_3PadIiiiLb0EEESD_SD_NS9_INS1_IJiiEEESG_Lb0EEESD_NS_23Merge_v2_magic_divisionISG_EESJ_NS_8RightPadIiiLb0EEESL_NS_7UnMergeISG_Lb0EEESD_EEENS1_IJNS_8SequenceIJLi0EEEENSP_IJLi1EEEENSP_IJLi2EEEENSP_IJLi3EEEENSP_IJLi4EEEENSP_IJLi5EEEENSP_IJLi6EEEENSP_IJLi7ELi9EEEENSP_IJLi8ELi10EEEENSP_IJLi11EEEENSP_IJLi12EEEENSP_IJLi14EEEENSP_IJLi13EEEEEEENS1_IJNSP_IJLi1ELi2ELi3EEEESU_SV_SW_NSP_IJLi7EEEENSP_IJLi8ELi9EEEENSP_IJLi10EEEESZ_S10_S12_S11_NSP_IJLi15ELi16EEEENSP_IJLi17EEEEEEENSP_IJLi15ELi17ELi16EEEElEENS8_INS1_IJSN_SL_SL_SN_SD_EEENS1_IJSQ_SR_SS_SU_ST_EEENS1_IJNSP_IJLi1ELi2EEEEST_SU_NSP_IJLi5ELi6EEEES15_EEENSP_IJLi5ELi7ELi6EEEElEENS8_INS1_IJSH_SL_SL_EEENS1_IJSQ_SR_SS_EEENS1_IJS1F_ST_SU_EEENSP_IJLi3ELi4EEEElEELi128ELi128ELi16ELi1ELi4ELi4ELi1ENSP_IJLi8ELi2EEEES1P_NSP_IJLi8ELi1ELi1ELi1EEEENSP_IJLi2ELi1ELi128ELi1EEEENSP_IJLi1ELi2ELi0ELi3EEEES1S_NSP_IJLi4ELi1ELi1ELi1EEEES1S_NSP_IJLi1ELi1ELi1ELi1EEEES1Q_S1R_S1S_S1S_S1T_S1S_S1U_NSP_IJLi0ELi1ELi2ELi3ELi4ELi5EEEELi5ELi4EE3RunINS1_IJNS8_INS1_IJSH_SL_SL_NSM_INS1_IJiNS_17integral_constantIiLi2EEENS1Y_IiLi64EEEEEELb0EEES22_EEENS1_IJSQ_SR_SS_ST_SU_EEENS1_IJS1F_ST_SU_NSP_IJLi5ELi6ELi7EEEENSP_IJLi8ELi9ELi10EEEEEEENSP_IJLi5ELi6ELi7ELi8ELi9ELi10EEEElEEEEELb1ELb0ENS_31BlockToCTileMap_M00_N00_M01_N01ILi128ELi128ES1O_Lb0EEEEEvPKfS2E_NS1_IJS2E_EEEPfPvRKS5_S2J_RKS6_RKNS8_INS1_IJSB_SD_SF_SD_SD_SH_SD_SJ_SJ_SL_SL_SN_SD_SD_NSM_INS1_IJiNS1Y_IiLi128EEEEEELb0EEENSC_INS1Y_IiLi1EEEEEEEENS1_IJSQ_SR_SS_ST_SU_SV_SW_SX_SY_SZ_S10_S11_S12_NSP_IJLi15EEEES19_NSP_IJLi16EEEEEEENS1_IJS14_SU_SV_SW_S15_S16_S17_SZ_S10_S12_S11_S18_S19_NSP_IJLi18EEEENSP_IJLi19ELi20EEEENSP_IJLi21EEEEEEENSP_IJLi18ELi19ELi20ELi21EEEElEERKNS8_INS1_IJSN_SL_SL_SN_SD_SD_S2O_S2Q_EEENS1_IJSQ_SR_SS_SU_ST_SV_S15_SW_EEENS1_IJS1F_ST_SU_S1G_S15_NSP_IJLi8EEEENSP_IJLi9ELi10EEEESZ_EEENSP_IJLi8ELi9ELi10ELi11EEEElEERKT_RKS29_RKT2_NS1Y_IbXT0_EEENS1Y_IbXT1_EEE,@function
_ZN2ck32GridwiseGemmDlMultipleD_km_kn_mnILi256EffNS_5TupleIJfEEEfNS_16tensor_operation12element_wise11PassThroughES5_NS4_7AddReluELNS_25InMemoryDataOperationEnumE0ENS_16TensorDescriptorINS1_IJNS_5EmbedINS1_IJiiiEEESA_Lb0EEENS_11PassThroughIiEENS_3PadIiiiLb0EEESD_SD_NS9_INS1_IJiiEEESG_Lb0EEESD_NS_23Merge_v2_magic_divisionISG_EESJ_NS_8RightPadIiiLb0EEESL_NS_7UnMergeISG_Lb0EEESD_EEENS1_IJNS_8SequenceIJLi0EEEENSP_IJLi1EEEENSP_IJLi2EEEENSP_IJLi3EEEENSP_IJLi4EEEENSP_IJLi5EEEENSP_IJLi6EEEENSP_IJLi7ELi9EEEENSP_IJLi8ELi10EEEENSP_IJLi11EEEENSP_IJLi12EEEENSP_IJLi14EEEENSP_IJLi13EEEEEEENS1_IJNSP_IJLi1ELi2ELi3EEEESU_SV_SW_NSP_IJLi7EEEENSP_IJLi8ELi9EEEENSP_IJLi10EEEESZ_S10_S12_S11_NSP_IJLi15ELi16EEEENSP_IJLi17EEEEEEENSP_IJLi15ELi17ELi16EEEElEENS8_INS1_IJSN_SL_SL_SN_SD_EEENS1_IJSQ_SR_SS_SU_ST_EEENS1_IJNSP_IJLi1ELi2EEEEST_SU_NSP_IJLi5ELi6EEEES15_EEENSP_IJLi5ELi7ELi6EEEElEENS8_INS1_IJSH_SL_SL_EEENS1_IJSQ_SR_SS_EEENS1_IJS1F_ST_SU_EEENSP_IJLi3ELi4EEEElEELi128ELi128ELi16ELi1ELi4ELi4ELi1ENSP_IJLi8ELi2EEEES1P_NSP_IJLi8ELi1ELi1ELi1EEEENSP_IJLi2ELi1ELi128ELi1EEEENSP_IJLi1ELi2ELi0ELi3EEEES1S_NSP_IJLi4ELi1ELi1ELi1EEEES1S_NSP_IJLi1ELi1ELi1ELi1EEEES1Q_S1R_S1S_S1S_S1T_S1S_S1U_NSP_IJLi0ELi1ELi2ELi3ELi4ELi5EEEELi5ELi4EE3RunINS1_IJNS8_INS1_IJSH_SL_SL_NSM_INS1_IJiNS_17integral_constantIiLi2EEENS1Y_IiLi64EEEEEELb0EEES22_EEENS1_IJSQ_SR_SS_ST_SU_EEENS1_IJS1F_ST_SU_NSP_IJLi5ELi6ELi7EEEENSP_IJLi8ELi9ELi10EEEEEEENSP_IJLi5ELi6ELi7ELi8ELi9ELi10EEEElEEEEELb1ELb0ENS_31BlockToCTileMap_M00_N00_M01_N01ILi128ELi128ES1O_Lb0EEEEEvPKfS2E_NS1_IJS2E_EEEPfPvRKS5_S2J_RKS6_RKNS8_INS1_IJSB_SD_SF_SD_SD_SH_SD_SJ_SJ_SL_SL_SN_SD_SD_NSM_INS1_IJiNS1Y_IiLi128EEEEEELb0EEENSC_INS1Y_IiLi1EEEEEEEENS1_IJSQ_SR_SS_ST_SU_SV_SW_SX_SY_SZ_S10_S11_S12_NSP_IJLi15EEEES19_NSP_IJLi16EEEEEEENS1_IJS14_SU_SV_SW_S15_S16_S17_SZ_S10_S12_S11_S18_S19_NSP_IJLi18EEEENSP_IJLi19ELi20EEEENSP_IJLi21EEEEEEENSP_IJLi18ELi19ELi20ELi21EEEElEERKNS8_INS1_IJSN_SL_SL_SN_SD_SD_S2O_S2Q_EEENS1_IJSQ_SR_SS_SU_ST_SV_S15_SW_EEENS1_IJS1F_ST_SU_S1G_S15_NSP_IJLi8EEEENSP_IJLi9ELi10EEEESZ_EEENSP_IJLi8ELi9ELi10ELi11EEEElEERKT_RKS29_RKT2_NS1Y_IbXT0_EEENS1Y_IbXT1_EEE: ; @_ZN2ck32GridwiseGemmDlMultipleD_km_kn_mnILi256EffNS_5TupleIJfEEEfNS_16tensor_operation12element_wise11PassThroughES5_NS4_7AddReluELNS_25InMemoryDataOperationEnumE0ENS_16TensorDescriptorINS1_IJNS_5EmbedINS1_IJiiiEEESA_Lb0EEENS_11PassThroughIiEENS_3PadIiiiLb0EEESD_SD_NS9_INS1_IJiiEEESG_Lb0EEESD_NS_23Merge_v2_magic_divisionISG_EESJ_NS_8RightPadIiiLb0EEESL_NS_7UnMergeISG_Lb0EEESD_EEENS1_IJNS_8SequenceIJLi0EEEENSP_IJLi1EEEENSP_IJLi2EEEENSP_IJLi3EEEENSP_IJLi4EEEENSP_IJLi5EEEENSP_IJLi6EEEENSP_IJLi7ELi9EEEENSP_IJLi8ELi10EEEENSP_IJLi11EEEENSP_IJLi12EEEENSP_IJLi14EEEENSP_IJLi13EEEEEEENS1_IJNSP_IJLi1ELi2ELi3EEEESU_SV_SW_NSP_IJLi7EEEENSP_IJLi8ELi9EEEENSP_IJLi10EEEESZ_S10_S12_S11_NSP_IJLi15ELi16EEEENSP_IJLi17EEEEEEENSP_IJLi15ELi17ELi16EEEElEENS8_INS1_IJSN_SL_SL_SN_SD_EEENS1_IJSQ_SR_SS_SU_ST_EEENS1_IJNSP_IJLi1ELi2EEEEST_SU_NSP_IJLi5ELi6EEEES15_EEENSP_IJLi5ELi7ELi6EEEElEENS8_INS1_IJSH_SL_SL_EEENS1_IJSQ_SR_SS_EEENS1_IJS1F_ST_SU_EEENSP_IJLi3ELi4EEEElEELi128ELi128ELi16ELi1ELi4ELi4ELi1ENSP_IJLi8ELi2EEEES1P_NSP_IJLi8ELi1ELi1ELi1EEEENSP_IJLi2ELi1ELi128ELi1EEEENSP_IJLi1ELi2ELi0ELi3EEEES1S_NSP_IJLi4ELi1ELi1ELi1EEEES1S_NSP_IJLi1ELi1ELi1ELi1EEEES1Q_S1R_S1S_S1S_S1T_S1S_S1U_NSP_IJLi0ELi1ELi2ELi3ELi4ELi5EEEELi5ELi4EE3RunINS1_IJNS8_INS1_IJSH_SL_SL_NSM_INS1_IJiNS_17integral_constantIiLi2EEENS1Y_IiLi64EEEEEELb0EEES22_EEENS1_IJSQ_SR_SS_ST_SU_EEENS1_IJS1F_ST_SU_NSP_IJLi5ELi6ELi7EEEENSP_IJLi8ELi9ELi10EEEEEEENSP_IJLi5ELi6ELi7ELi8ELi9ELi10EEEElEEEEELb1ELb0ENS_31BlockToCTileMap_M00_N00_M01_N01ILi128ELi128ES1O_Lb0EEEEEvPKfS2E_NS1_IJS2E_EEEPfPvRKS5_S2J_RKS6_RKNS8_INS1_IJSB_SD_SF_SD_SD_SH_SD_SJ_SJ_SL_SL_SN_SD_SD_NSM_INS1_IJiNS1Y_IiLi128EEEEEELb0EEENSC_INS1Y_IiLi1EEEEEEEENS1_IJSQ_SR_SS_ST_SU_SV_SW_SX_SY_SZ_S10_S11_S12_NSP_IJLi15EEEES19_NSP_IJLi16EEEEEEENS1_IJS14_SU_SV_SW_S15_S16_S17_SZ_S10_S12_S11_S18_S19_NSP_IJLi18EEEENSP_IJLi19ELi20EEEENSP_IJLi21EEEEEEENSP_IJLi18ELi19ELi20ELi21EEEElEERKNS8_INS1_IJSN_SL_SL_SN_SD_SD_S2O_S2Q_EEENS1_IJSQ_SR_SS_SU_ST_SV_S15_SW_EEENS1_IJS1F_ST_SU_S1G_S15_NSP_IJLi8EEEENSP_IJLi9ELi10EEEESZ_EEENSP_IJLi8ELi9ELi10ELi11EEEElEERKT_RKS29_RKT2_NS1Y_IbXT0_EEENS1Y_IbXT1_EEE
; %bb.0:
	s_waitcnt vmcnt(0) expcnt(0) lgkmcnt(0)
	v_dual_mov_b32 v19, v5 :: v_dual_mov_b32 v18, v4
	s_clause 0x3
	flat_load_b128 v[50:53], v[16:17] offset:68
	flat_load_b128 v[64:67], v[16:17] offset:88
	;; [unrolled: 1-line block ×3, first 2 shown]
	flat_load_b32 v20, v[16:17] offset:20
	s_clause 0x8
	flat_load_b32 v36, v[8:9] offset:156
	flat_load_b32 v21, v[8:9] offset:80
	;; [unrolled: 1-line block ×6, first 2 shown]
	flat_load_b64 v[29:30], v[8:9] offset:56
	flat_load_b32 v54, v[8:9] offset:128
	flat_load_b32 v49, v[8:9] offset:100
	;; [unrolled: 1-line block ×4, first 2 shown]
	s_clause 0x2
	flat_load_b96 v[23:25], v[8:9] offset:28
	flat_load_b96 v[26:28], v[8:9] offset:12
	flat_load_b32 v48, v[8:9] offset:140
	flat_load_b32 v80, v[10:11] offset:8
	;; [unrolled: 1-line block ×4, first 2 shown]
	flat_load_b64 v[4:5], v[14:15] offset:72
	v_and_b32_e32 v31, 0x3ff, v31
	s_mov_b32 s10, 0
	s_mov_b32 s3, exec_lo
	s_waitcnt vmcnt(0) lgkmcnt(0)
	v_mul_hi_u32 v5, v53, s12
	s_delay_alu instid0(VALU_DEP_1) | instskip(NEXT) | instid1(VALU_DEP_1)
	v_add_nc_u32_e32 v5, s12, v5
	v_lshrrev_b32_e32 v53, v67, v5
	s_delay_alu instid0(VALU_DEP_1) | instskip(NEXT) | instid1(VALU_DEP_1)
	v_mul_hi_u32 v5, v53, v52
	v_add_nc_u32_e32 v5, v53, v5
	s_delay_alu instid0(VALU_DEP_1) | instskip(NEXT) | instid1(VALU_DEP_1)
	v_lshrrev_b32_e32 v52, v66, v5
	v_mul_hi_u32 v5, v52, v51
	v_mul_lo_u32 v16, v52, v70
	s_delay_alu instid0(VALU_DEP_2) | instskip(NEXT) | instid1(VALU_DEP_1)
	v_add_nc_u32_e32 v5, v52, v5
	v_lshrrev_b32_e32 v65, v65, v5
	s_delay_alu instid0(VALU_DEP_1) | instskip(NEXT) | instid1(VALU_DEP_1)
	v_mul_hi_u32 v5, v65, v50
	v_add_nc_u32_e32 v5, v65, v5
	s_delay_alu instid0(VALU_DEP_1) | instskip(NEXT) | instid1(VALU_DEP_1)
	v_lshrrev_b32_e32 v5, v64, v5
	v_mul_lo_u32 v17, v5, v68
	v_sub_nc_u32_e32 v5, v53, v16
	s_delay_alu instid0(VALU_DEP_2) | instskip(NEXT) | instid1(VALU_DEP_1)
	v_sub_nc_u32_e32 v33, v65, v17
	v_mad_u64_u32 v[16:17], null, v33, v20, v[5:6]
	v_lshlrev_b32_e32 v5, 3, v31
	v_lshrrev_b32_e32 v33, 1, v31
	v_lshlrev_b32_e32 v20, 1, v31
	v_lshrrev_b32_e32 v17, 5, v31
	s_delay_alu instid0(VALU_DEP_4) | instskip(SKIP_1) | instid1(VALU_DEP_4)
	v_and_b32_e32 v38, 8, v5
	v_readfirstlane_b32 s8, v16
	v_and_b32_e32 v64, 0x1f8, v20
	v_and_b32_e32 v66, 0x1fc, v20
	s_delay_alu instid0(VALU_DEP_4) | instskip(NEXT) | instid1(VALU_DEP_4)
	v_mul_lo_u32 v50, v36, v38
	v_lshl_or_b32 v161, s8, 7, v33
	s_delay_alu instid0(VALU_DEP_1) | instskip(SKIP_1) | instid1(VALU_DEP_4)
	v_mul_hi_u32 v5, v21, v161
	v_lshlrev_b32_e32 v21, 6, v17
	v_mul_hi_u32 v16, v50, v37
	v_cmp_lt_i32_e64 s1, v50, v48
	s_delay_alu instid0(VALU_DEP_3) | instskip(SKIP_1) | instid1(VALU_DEP_4)
	v_sub_nc_u32_e32 v67, v64, v21
	v_add_nc_u32_e32 v5, v161, v5
	v_add_nc_u32_e32 v16, v50, v16
	s_delay_alu instid0(VALU_DEP_2) | instskip(NEXT) | instid1(VALU_DEP_2)
	v_lshrrev_b32_e32 v22, v22, v5
	v_lshrrev_b32_e32 v51, v39, v16
	s_delay_alu instid0(VALU_DEP_2) | instskip(SKIP_2) | instid1(VALU_DEP_4)
	v_mul_lo_u32 v16, v22, v32
	v_mul_lo_u32 v32, v53, v71
	;; [unrolled: 1-line block ×4, first 2 shown]
	v_lshlrev_b32_e32 v65, 2, v31
	v_mul_lo_u32 v22, v22, v26
	v_sub_nc_u32_e32 v20, v161, v16
	v_sub_nc_u32_e32 v16, s12, v32
	v_sub_nc_u32_e32 v52, v52, v53
	v_mul_lo_u32 v53, v51, v49
	s_delay_alu instid0(VALU_DEP_4) | instskip(NEXT) | instid1(VALU_DEP_3)
	v_mad_u64_u32 v[31:32], null, v20, v30, v[5:6]
	v_mad_u64_u32 v[20:21], null, v52, v55, v[16:17]
	v_sub_nc_u32_e32 v16, v66, v64
	v_sub_nc_u32_e32 v52, v23, v25
	;; [unrolled: 1-line block ×3, first 2 shown]
	v_and_or_b32 v30, v65, 4, v67
	v_sub_nc_u32_e32 v21, v31, v24
	v_lshl_add_u32 v32, v17, 3, v16
	v_mov_b32_e32 v17, 0x31004000
	v_readfirstlane_b32 s9, v20
	v_mul_lo_u32 v5, v34, v38
	v_mul_lo_u32 v20, v28, v53
	;; [unrolled: 1-line block ×3, first 2 shown]
	v_cmp_ge_i32_e32 vcc_lo, v31, v24
	v_lshl_or_b32 v162, s9, 7, v33
	v_cmp_gt_i32_e64 s0, v52, v31
	v_lshlrev_b32_e32 v16, 2, v81
	s_delay_alu instid0(VALU_DEP_3) | instskip(SKIP_1) | instid1(VALU_DEP_4)
	v_mad_u64_u32 v[25:26], null, v80, v162, v[5:6]
	v_add3_u32 v26, v20, v22, v21
	s_and_b32 s0, vcc_lo, s0
	v_cmp_lt_i32_e32 vcc_lo, v161, v54
	s_and_b32 s0, s1, s0
	s_delay_alu instid0(VALU_DEP_2)
	v_lshlrev_b32_e32 v54, 2, v26
	s_and_b32 s0, vcc_lo, s0
.LBB3_1:                                ; =>This Inner Loop Header: Depth=1
	v_readfirstlane_b32 s4, v0
	v_readfirstlane_b32 s5, v1
	;; [unrolled: 1-line block ×4, first 2 shown]
	s_delay_alu instid0(VALU_DEP_3) | instskip(NEXT) | instid1(VALU_DEP_2)
	v_cmp_eq_u64_e64 s1, s[4:5], v[0:1]
	v_cmp_eq_u64_e64 s2, s[6:7], v[16:17]
	s_delay_alu instid0(VALU_DEP_1) | instskip(NEXT) | instid1(SALU_CYCLE_1)
	s_and_b32 s1, s1, s2
	s_and_saveexec_b32 s1, s1
	buffer_load_b128 v[20:23], v54, s[4:7], 0 offen
                                        ; implicit-def: $vgpr54
	s_xor_b32 exec_lo, exec_lo, s1
	s_cbranch_execnz .LBB3_1
; %bb.2:
	s_mov_b32 exec_lo, s3
	v_lshl_add_u32 v177, v36, 2, v50
	s_waitcnt vmcnt(0)
	v_cndmask_b32_e64 v129, 0, v23, s0
	v_cndmask_b32_e64 v164, 0, v22, s0
	;; [unrolled: 1-line block ×4, first 2 shown]
	v_mul_hi_u32 v36, v37, v177
	v_cmp_lt_i32_e64 s3, v177, v48
	s_delay_alu instid0(VALU_DEP_2) | instskip(NEXT) | instid1(VALU_DEP_1)
	v_add_nc_u32_e32 v36, v177, v36
	v_lshrrev_b32_e32 v176, v39, v36
	s_delay_alu instid0(VALU_DEP_1) | instskip(SKIP_1) | instid1(VALU_DEP_1)
	v_mul_lo_u32 v36, v176, v49
	v_sub_nc_u32_e32 v37, v176, v51
	v_mul_lo_u32 v29, v37, v29
	s_delay_alu instid0(VALU_DEP_3) | instskip(NEXT) | instid1(VALU_DEP_1)
	v_sub_nc_u32_e32 v178, v177, v36
	v_sub_nc_u32_e32 v36, v178, v53
	s_delay_alu instid0(VALU_DEP_3) | instskip(NEXT) | instid1(VALU_DEP_2)
	v_mul_lo_u32 v27, v29, v27
	v_mul_lo_u32 v36, v28, v36
	v_add_nc_u32_e32 v28, v31, v29
	s_delay_alu instid0(VALU_DEP_1) | instskip(SKIP_1) | instid1(VALU_DEP_4)
	v_cmp_le_i32_e64 s1, v24, v28
	v_cmp_gt_i32_e64 s2, v52, v28
	v_add3_u32 v24, v36, v27, v26
	s_delay_alu instid0(VALU_DEP_2) | instskip(NEXT) | instid1(VALU_DEP_1)
	s_and_b32 s0, s1, s2
	v_lshlrev_b32_e32 v26, 2, v24
	s_and_b32 s0, s3, s0
	s_mov_b32 s2, exec_lo
	s_and_b32 vcc_lo, vcc_lo, s0
.LBB3_3:                                ; =>This Inner Loop Header: Depth=1
	v_readfirstlane_b32 s4, v0
	v_readfirstlane_b32 s5, v1
	;; [unrolled: 1-line block ×4, first 2 shown]
	s_delay_alu instid0(VALU_DEP_3) | instskip(NEXT) | instid1(VALU_DEP_2)
	v_cmp_eq_u64_e64 s0, s[4:5], v[0:1]
	v_cmp_eq_u64_e64 s1, s[6:7], v[16:17]
	s_delay_alu instid0(VALU_DEP_1) | instskip(NEXT) | instid1(SALU_CYCLE_1)
	s_and_b32 s0, s0, s1
	s_and_saveexec_b32 s0, s0
	buffer_load_b128 v[20:23], v26, s[4:7], 0 offen
                                        ; implicit-def: $vgpr26
	s_xor_b32 exec_lo, exec_lo, s0
	s_cbranch_execnz .LBB3_3
; %bb.4:
	s_mov_b32 exec_lo, s2
	s_clause 0x1
	flat_load_b32 v29, v[10:11] offset:32
	flat_load_b32 v26, v[10:11] offset:20
	s_waitcnt vmcnt(2)
	v_dual_cndmask_b32 v167, 0, v23 :: v_dual_cndmask_b32 v180, 0, v22
	v_dual_cndmask_b32 v181, 0, v21 :: v_dual_cndmask_b32 v182, 0, v20
	v_lshlrev_b32_e32 v31, 2, v25
	s_mov_b32 s3, exec_lo
	v_mov_b32_e32 v27, 0x31004000
	s_waitcnt vmcnt(1) lgkmcnt(1)
	v_cmp_gt_i32_e64 s0, v29, v5
	s_waitcnt vmcnt(0) lgkmcnt(0)
	v_cmp_gt_i32_e32 vcc_lo, v26, v162
	v_lshlrev_b32_e32 v26, 2, v35
	s_delay_alu instid0(VALU_DEP_3)
	s_and_b32 s0, vcc_lo, s0
.LBB3_5:                                ; =>This Inner Loop Header: Depth=1
	v_readfirstlane_b32 s4, v2
	v_readfirstlane_b32 s5, v3
	s_delay_alu instid0(VALU_DEP_3) | instskip(SKIP_1) | instid1(VALU_DEP_3)
	v_readfirstlane_b32 s6, v26
	v_readfirstlane_b32 s7, v27
	v_cmp_eq_u64_e64 s1, s[4:5], v[2:3]
	s_delay_alu instid0(VALU_DEP_2) | instskip(NEXT) | instid1(VALU_DEP_1)
	v_cmp_eq_u64_e64 s2, s[6:7], v[26:27]
	s_and_b32 s1, s1, s2
	s_delay_alu instid0(SALU_CYCLE_1)
	s_and_saveexec_b32 s1, s1
	buffer_load_b128 v[20:23], v31, s[4:7], 0 offen
                                        ; implicit-def: $vgpr31
	s_xor_b32 exec_lo, exec_lo, s1
	s_cbranch_execnz .LBB3_5
; %bb.6:
	s_mov_b32 exec_lo, s3
	v_lshlrev_b32_e32 v31, 2, v34
	s_waitcnt vmcnt(0)
	v_cndmask_b32_e64 v183, 0, v23, s0
	v_cndmask_b32_e64 v192, 0, v22, s0
	;; [unrolled: 1-line block ×4, first 2 shown]
	v_add_nc_u32_e32 v179, v31, v5
	v_add_nc_u32_e32 v25, v25, v31
	s_mov_b32 s2, exec_lo
	s_delay_alu instid0(VALU_DEP_2) | instskip(NEXT) | instid1(VALU_DEP_2)
	v_cmp_gt_i32_e64 s1, v29, v179
	v_lshlrev_b32_e32 v5, 2, v25
	s_delay_alu instid0(VALU_DEP_2)
	s_and_b32 vcc_lo, vcc_lo, s1
.LBB3_7:                                ; =>This Inner Loop Header: Depth=1
	v_readfirstlane_b32 s4, v2
	v_readfirstlane_b32 s5, v3
	;; [unrolled: 1-line block ×4, first 2 shown]
	s_delay_alu instid0(VALU_DEP_3) | instskip(NEXT) | instid1(VALU_DEP_2)
	v_cmp_eq_u64_e64 s0, s[4:5], v[2:3]
	v_cmp_eq_u64_e64 s1, s[6:7], v[26:27]
	s_delay_alu instid0(VALU_DEP_1) | instskip(NEXT) | instid1(SALU_CYCLE_1)
	s_and_b32 s0, s0, s1
	s_and_saveexec_b32 s0, s0
	buffer_load_b128 v[20:23], v5, s[4:7], 0 offen
                                        ; implicit-def: $vgpr5
	s_xor_b32 exec_lo, exec_lo, s0
	s_cbranch_execnz .LBB3_7
; %bb.8:
	s_mov_b32 exec_lo, s2
	flat_load_b32 v195, v[8:9] offset:168
	v_dual_mov_b32 v130, 0 :: v_dual_lshlrev_b32 v39, 2, v33
	s_waitcnt vmcnt(1)
	v_dual_cndmask_b32 v23, 0, v23 :: v_dual_cndmask_b32 v22, 0, v22
	v_dual_mov_b32 v132, 0 :: v_dual_lshlrev_b32 v151, 2, v32
	s_delay_alu instid0(VALU_DEP_3)
	v_lshl_or_b32 v163, v38, 9, v39
	v_dual_mov_b32 v29, v177 :: v_dual_lshlrev_b32 v160, 2, v30
	v_dual_mov_b32 v133, 0 :: v_dual_mov_b32 v86, 0
	v_dual_mov_b32 v131, 0 :: v_dual_mov_b32 v84, 0
	;; [unrolled: 1-line block ×29, first 2 shown]
	v_mov_b32_e32 v119, 0
	v_mov_b32_e32 v117, 0
	v_mov_b32_e32 v39, 0
	ds_store_2addr_stride64_b32 v163, v166, v165 offset1:2
	ds_store_2addr_stride64_b32 v163, v164, v129 offset0:4 offset1:6
	ds_store_2addr_stride64_b32 v163, v182, v181 offset0:8 offset1:10
	;; [unrolled: 1-line block ×3, first 2 shown]
	v_or_b32_e32 v164, 0x4000, v163
	v_or_b32_e32 v165, 0x2000, v163
	;; [unrolled: 1-line block ×3, first 2 shown]
	v_mov_b32_e32 v129, 0
	v_dual_cndmask_b32 v21, 0, v21 :: v_dual_cndmask_b32 v20, 0, v20
	s_mov_b32 s11, 0
	ds_store_2addr_stride64_b32 v163, v194, v193 offset0:64 offset1:66
	ds_store_2addr_stride64_b32 v163, v192, v183 offset0:68 offset1:70
	;; [unrolled: 1-line block ×4, first 2 shown]
	s_waitcnt vmcnt(0) lgkmcnt(8)
	v_subrev_nc_u32_e32 v167, 32, v195
.LBB3_9:                                ; =>This Loop Header: Depth=1
                                        ;     Child Loop BB3_10 Depth 2
                                        ;     Child Loop BB3_12 Depth 2
	;; [unrolled: 1-line block ×8, first 2 shown]
	s_clause 0x5
	flat_load_b32 v180, v[8:9] offset:156
	flat_load_b32 v194, v[8:9] offset:108
	;; [unrolled: 1-line block ×7, first 2 shown]
	s_mov_b32 s3, exec_lo
	s_waitcnt vmcnt(6) lgkmcnt(6)
	v_mul_lo_u32 v20, v180, 12
	s_delay_alu instid0(VALU_DEP_1) | instskip(SKIP_2) | instid1(VALU_DEP_2)
	v_add_nc_u32_e32 v177, v20, v177
	v_add_nc_u32_e32 v181, v20, v29
	s_waitcnt vmcnt(5) lgkmcnt(5)
	v_mul_hi_u32 v20, v177, v194
	s_waitcnt vmcnt(2) lgkmcnt(2)
	s_delay_alu instid0(VALU_DEP_2) | instskip(NEXT) | instid1(VALU_DEP_2)
	v_cmp_lt_i32_e64 s0, v181, v209
	v_add_nc_u32_e32 v20, v177, v20
	s_delay_alu instid0(VALU_DEP_1) | instskip(NEXT) | instid1(VALU_DEP_1)
	v_lshrrev_b32_e32 v182, v193, v20
	v_sub_nc_u32_e32 v21, v182, v176
	s_delay_alu instid0(VALU_DEP_1) | instskip(NEXT) | instid1(VALU_DEP_1)
	v_mul_lo_u32 v21, v21, v208
	v_add_nc_u32_e32 v199, v21, v28
	flat_load_b64 v[28:29], v[8:9] offset:16
	s_waitcnt vmcnt(2) lgkmcnt(2)
	v_mul_lo_u32 v20, v182, v198
	s_delay_alu instid0(VALU_DEP_1) | instskip(NEXT) | instid1(VALU_DEP_1)
	v_sub_nc_u32_e32 v195, v177, v20
	v_sub_nc_u32_e32 v20, v195, v178
	s_waitcnt vmcnt(0) lgkmcnt(0)
	v_mul_lo_u32 v21, v21, v28
	s_delay_alu instid0(VALU_DEP_2) | instskip(NEXT) | instid1(VALU_DEP_1)
	v_mul_lo_u32 v20, v20, v29
	v_add3_u32 v196, v21, v24, v20
	v_mul_lo_u32 v20, v183, 12
	s_delay_alu instid0(VALU_DEP_1)
	v_add_nc_u32_e32 v192, v20, v179
	v_add_nc_u32_e32 v197, v20, v25
	s_clause 0x1
	flat_load_b32 v20, v[8:9] offset:128
	flat_load_b96 v[23:25], v[8:9] offset:28
	s_waitcnt vmcnt(1) lgkmcnt(1)
	v_cmp_lt_i32_e32 vcc_lo, v161, v20
	s_waitcnt vmcnt(0) lgkmcnt(0)
	v_sub_nc_u32_e32 v210, v23, v25
	v_cmp_le_i32_e64 s1, v24, v199
	v_lshlrev_b32_e32 v25, 2, v196
	s_delay_alu instid0(VALU_DEP_3) | instskip(NEXT) | instid1(VALU_DEP_1)
	v_cmp_gt_i32_e64 s2, v210, v199
	s_and_b32 s1, s1, s2
	s_delay_alu instid0(SALU_CYCLE_1) | instskip(NEXT) | instid1(SALU_CYCLE_1)
	s_and_b32 s0, s0, s1
	s_and_b32 s0, vcc_lo, s0
.LBB3_10:                               ;   Parent Loop BB3_9 Depth=1
                                        ; =>  This Inner Loop Header: Depth=2
	v_readfirstlane_b32 s4, v0
	v_readfirstlane_b32 s5, v1
	v_readfirstlane_b32 s6, v16
	v_readfirstlane_b32 s7, v17
	s_delay_alu instid0(VALU_DEP_3) | instskip(NEXT) | instid1(VALU_DEP_2)
	v_cmp_eq_u64_e64 s1, s[4:5], v[0:1]
	v_cmp_eq_u64_e64 s2, s[6:7], v[16:17]
	s_delay_alu instid0(VALU_DEP_1) | instskip(NEXT) | instid1(SALU_CYCLE_1)
	s_and_b32 s1, s1, s2
	s_and_saveexec_b32 s1, s1
	buffer_load_b128 v[20:23], v25, s[4:7], 0 offen
                                        ; implicit-def: $vgpr25
	s_xor_b32 exec_lo, exec_lo, s1
	s_cbranch_execnz .LBB3_10
; %bb.11:                               ;   in Loop: Header=BB3_9 Depth=1
	s_mov_b32 exec_lo, s3
	v_lshlrev_b32_e32 v179, 2, v180
	s_delay_alu instid0(VALU_DEP_1) | instskip(SKIP_1) | instid1(VALU_DEP_2)
	v_add_nc_u32_e32 v177, v179, v177
	v_add_nc_u32_e32 v179, v179, v181
	v_mul_hi_u32 v25, v177, v194
	s_delay_alu instid0(VALU_DEP_2) | instskip(NEXT) | instid1(VALU_DEP_2)
	v_cmp_lt_i32_e64 s3, v179, v209
	v_add_nc_u32_e32 v25, v177, v25
	s_delay_alu instid0(VALU_DEP_1) | instskip(NEXT) | instid1(VALU_DEP_1)
	v_lshrrev_b32_e32 v176, v193, v25
	v_mul_lo_u32 v25, v176, v198
	v_sub_nc_u32_e32 v180, v176, v182
	s_delay_alu instid0(VALU_DEP_2) | instskip(NEXT) | instid1(VALU_DEP_2)
	v_sub_nc_u32_e32 v178, v177, v25
	v_mul_lo_u32 v25, v180, v208
	s_delay_alu instid0(VALU_DEP_2) | instskip(NEXT) | instid1(VALU_DEP_2)
	v_sub_nc_u32_e32 v180, v178, v195
	v_mul_lo_u32 v182, v25, v28
	s_delay_alu instid0(VALU_DEP_2) | instskip(SKIP_4) | instid1(VALU_DEP_3)
	v_mul_lo_u32 v29, v180, v29
	v_add_nc_u32_e32 v180, v25, v199
	s_waitcnt vmcnt(0)
	v_cndmask_b32_e64 v25, 0, v23, s0
	v_cndmask_b32_e64 v28, 0, v22, s0
	v_cmp_le_i32_e64 s1, v24, v180
	v_cmp_gt_i32_e64 s2, v210, v180
	v_add3_u32 v181, v182, v196, v29
	v_cndmask_b32_e64 v29, 0, v21, s0
	v_cndmask_b32_e64 v24, 0, v20, s0
	s_delay_alu instid0(VALU_DEP_4) | instskip(NEXT) | instid1(VALU_DEP_3)
	s_and_b32 s0, s1, s2
	v_lshlrev_b32_e32 v182, 2, v181
	s_and_b32 s0, s3, s0
	s_mov_b32 s2, exec_lo
	s_and_b32 s0, vcc_lo, s0
.LBB3_12:                               ;   Parent Loop BB3_9 Depth=1
                                        ; =>  This Inner Loop Header: Depth=2
	v_readfirstlane_b32 s4, v0
	v_readfirstlane_b32 s5, v1
	;; [unrolled: 1-line block ×4, first 2 shown]
	s_delay_alu instid0(VALU_DEP_3) | instskip(NEXT) | instid1(VALU_DEP_2)
	v_cmp_eq_u64_e32 vcc_lo, s[4:5], v[0:1]
	v_cmp_eq_u64_e64 s1, s[6:7], v[16:17]
	s_delay_alu instid0(VALU_DEP_1) | instskip(NEXT) | instid1(SALU_CYCLE_1)
	s_and_b32 s1, vcc_lo, s1
	s_and_saveexec_b32 s1, s1
	buffer_load_b128 v[20:23], v182, s[4:7], 0 offen
                                        ; implicit-def: $vgpr182
	s_xor_b32 exec_lo, exec_lo, s1
	s_cbranch_execnz .LBB3_12
; %bb.13:                               ;   in Loop: Header=BB3_9 Depth=1
	s_mov_b32 exec_lo, s2
	s_clause 0x1
	flat_load_b32 v198, v[10:11] offset:32
	flat_load_b32 v194, v[10:11] offset:20
	s_waitcnt vmcnt(2)
	v_cndmask_b32_e64 v182, 0, v23, s0
	v_cndmask_b32_e64 v193, 0, v22, s0
	;; [unrolled: 1-line block ×3, first 2 shown]
	v_lshlrev_b32_e32 v196, 2, v197
	s_mov_b32 s3, exec_lo
	s_waitcnt vmcnt(1) lgkmcnt(1)
	v_cmp_gt_i32_e64 s1, v198, v192
	s_waitcnt vmcnt(0) lgkmcnt(0)
	v_cmp_gt_i32_e32 vcc_lo, v194, v162
	v_cndmask_b32_e64 v194, 0, v21, s0
	s_delay_alu instid0(VALU_DEP_3)
	s_and_b32 s0, vcc_lo, s1
.LBB3_14:                               ;   Parent Loop BB3_9 Depth=1
                                        ; =>  This Inner Loop Header: Depth=2
	v_readfirstlane_b32 s4, v2
	v_readfirstlane_b32 s5, v3
	;; [unrolled: 1-line block ×4, first 2 shown]
	s_delay_alu instid0(VALU_DEP_3) | instskip(NEXT) | instid1(VALU_DEP_2)
	v_cmp_eq_u64_e64 s1, s[4:5], v[2:3]
	v_cmp_eq_u64_e64 s2, s[6:7], v[26:27]
	s_delay_alu instid0(VALU_DEP_1) | instskip(NEXT) | instid1(SALU_CYCLE_1)
	s_and_b32 s1, s1, s2
	s_and_saveexec_b32 s1, s1
	buffer_load_b128 v[20:23], v196, s[4:7], 0 offen
                                        ; implicit-def: $vgpr196
	s_xor_b32 exec_lo, exec_lo, s1
	s_cbranch_execnz .LBB3_14
; %bb.15:                               ;   in Loop: Header=BB3_9 Depth=1
	s_mov_b32 exec_lo, s3
	v_lshlrev_b32_e32 v183, 2, v183
	s_waitcnt vmcnt(0)
	v_cndmask_b32_e64 v196, 0, v23, s0
	v_cndmask_b32_e64 v199, 0, v20, s0
	s_mov_b32 s2, exec_lo
	v_add_nc_u32_e32 v192, v183, v192
	v_add_nc_u32_e32 v183, v183, v197
	v_cndmask_b32_e64 v197, 0, v22, s0
	s_delay_alu instid0(VALU_DEP_3) | instskip(SKIP_1) | instid1(VALU_DEP_4)
	v_cmp_gt_i32_e64 s1, v198, v192
	v_cndmask_b32_e64 v198, 0, v21, s0
	v_lshlrev_b32_e32 v208, 2, v183
	s_delay_alu instid0(VALU_DEP_3)
	s_and_b32 vcc_lo, vcc_lo, s1
.LBB3_16:                               ;   Parent Loop BB3_9 Depth=1
                                        ; =>  This Inner Loop Header: Depth=2
	v_readfirstlane_b32 s4, v2
	v_readfirstlane_b32 s5, v3
	v_readfirstlane_b32 s6, v26
	v_readfirstlane_b32 s7, v27
	s_delay_alu instid0(VALU_DEP_3) | instskip(NEXT) | instid1(VALU_DEP_2)
	v_cmp_eq_u64_e64 s0, s[4:5], v[2:3]
	v_cmp_eq_u64_e64 s1, s[6:7], v[26:27]
	s_delay_alu instid0(VALU_DEP_1) | instskip(NEXT) | instid1(SALU_CYCLE_1)
	s_and_b32 s0, s0, s1
	s_and_saveexec_b32 s0, s0
	buffer_load_b128 v[20:23], v208, s[4:7], 0 offen
                                        ; implicit-def: $vgpr208
	s_xor_b32 exec_lo, exec_lo, s0
	s_cbranch_execnz .LBB3_16
; %bb.17:                               ;   in Loop: Header=BB3_9 Depth=1
	s_mov_b32 exec_lo, s2
	s_waitcnt vmcnt(0) lgkmcnt(0)
	s_waitcnt_vscnt null, 0x0
	s_barrier
	ds_load_b128 v[208:211], v151
	ds_load_b128 v[212:215], v160 offset:16384
	ds_load_b128 v[224:227], v160 offset:16640
	;; [unrolled: 1-line block ×3, first 2 shown]
	v_dual_cndmask_b32 v23, 0, v23 :: v_dual_cndmask_b32 v22, 0, v22
	v_dual_cndmask_b32 v21, 0, v21 :: v_dual_cndmask_b32 v20, 0, v20
	s_mov_b32 s3, exec_lo
	s_waitcnt lgkmcnt(2)
	;;#ASMSTART
	
             v_fmac_f32 v149, v208, v212 
             
	;;#ASMEND
	;;#ASMSTART
	
             v_fmac_f32 v150, v208, v213 
             
	;;#ASMEND
	;; [unrolled: 5-line block ×16, first 2 shown]
	s_waitcnt lgkmcnt(1)
	;;#ASMSTART
	
             v_fmac_f32 v145, v208, v224 
             
	;;#ASMEND
	;;#ASMSTART
	
             v_fmac_f32 v146, v208, v225 
             
	;;#ASMEND
	;;#ASMSTART
	
             v_fmac_f32 v31, v208, v226 
             
	;;#ASMEND
	;;#ASMSTART
	
             v_fmac_f32 v33, v208, v227 
             
	;;#ASMEND
	;;#ASMSTART
	
             v_fmac_f32 v81, v209, v224 
             
	;;#ASMEND
	;;#ASMSTART
	
             v_fmac_f32 v82, v209, v225 
             
	;;#ASMEND
	;;#ASMSTART
	
             v_fmac_f32 v71, v209, v226 
             
	;;#ASMEND
	;;#ASMSTART
	
             v_fmac_f32 v80, v209, v227 
             
	;;#ASMEND
	;;#ASMSTART
	
             v_fmac_f32 v5, v210, v224 
             
	;;#ASMEND
	;;#ASMSTART
	
             v_fmac_f32 v70, v210, v225 
             
	;;#ASMEND
	;;#ASMSTART
	
             v_fmac_f32 v68, v210, v226 
             
	;;#ASMEND
	;;#ASMSTART
	
             v_fmac_f32 v69, v210, v227 
             
	;;#ASMEND
	;;#ASMSTART
	
             v_fmac_f32 v87, v211, v224 
             
	;;#ASMEND
	;;#ASMSTART
	
             v_fmac_f32 v86, v211, v225 
             
	;;#ASMEND
	;;#ASMSTART
	
             v_fmac_f32 v84, v211, v226 
             
	;;#ASMEND
	;;#ASMSTART
	
             v_fmac_f32 v85, v211, v227 
             
	;;#ASMEND
	ds_load_b128 v[208:211], v151 offset:512
	s_waitcnt lgkmcnt(1)
	;;#ASMSTART
	
             v_fmac_f32 v130, v228, v212 
             
	;;#ASMEND
	;;#ASMSTART
	
             v_fmac_f32 v133, v228, v213 
             
	;;#ASMEND
	;; [unrolled: 5-line block ×16, first 2 shown]
	ds_load_b128 v[212:215], v160 offset:16896
	;;#ASMSTART
	
             v_fmac_f32 v50, v228, v224 
             
	;;#ASMEND
	;;#ASMSTART
	
             v_fmac_f32 v51, v228, v225 
             
	;;#ASMEND
	;; [unrolled: 5-line block ×16, first 2 shown]
	ds_load_b128 v[224:227], v160 offset:17152
	ds_load_b128 v[228:231], v151 offset:768
	s_waitcnt lgkmcnt(2)
	;;#ASMSTART
	
             v_fmac_f32 v149, v208, v212 
             
	;;#ASMEND
	;;#ASMSTART
	
             v_fmac_f32 v150, v208, v213 
             
	;;#ASMEND
	;; [unrolled: 5-line block ×16, first 2 shown]
	s_waitcnt lgkmcnt(1)
	;;#ASMSTART
	
             v_fmac_f32 v145, v208, v224 
             
	;;#ASMEND
	;;#ASMSTART
	
             v_fmac_f32 v146, v208, v225 
             
	;;#ASMEND
	;; [unrolled: 5-line block ×16, first 2 shown]
	ds_load_b128 v[208:211], v151 offset:1024
	s_waitcnt lgkmcnt(1)
	;;#ASMSTART
	
             v_fmac_f32 v130, v228, v212 
             
	;;#ASMEND
	;;#ASMSTART
	
             v_fmac_f32 v133, v228, v213 
             
	;;#ASMEND
	;; [unrolled: 5-line block ×16, first 2 shown]
	ds_load_b128 v[212:215], v160 offset:17408
	;;#ASMSTART
	
             v_fmac_f32 v50, v228, v224 
             
	;;#ASMEND
	;;#ASMSTART
	
             v_fmac_f32 v51, v228, v225 
             
	;;#ASMEND
	;; [unrolled: 5-line block ×16, first 2 shown]
	ds_load_b128 v[224:227], v160 offset:17664
	ds_load_b128 v[228:231], v151 offset:1280
	s_waitcnt lgkmcnt(2)
	;;#ASMSTART
	
             v_fmac_f32 v149, v208, v212 
             
	;;#ASMEND
	;;#ASMSTART
	
             v_fmac_f32 v150, v208, v213 
             
	;;#ASMEND
	;; [unrolled: 5-line block ×16, first 2 shown]
	s_waitcnt lgkmcnt(1)
	;;#ASMSTART
	
             v_fmac_f32 v145, v208, v224 
             
	;;#ASMEND
	;;#ASMSTART
	
             v_fmac_f32 v146, v208, v225 
             
	;;#ASMEND
	;; [unrolled: 5-line block ×16, first 2 shown]
	ds_load_b128 v[208:211], v151 offset:1536
	s_waitcnt lgkmcnt(1)
	;;#ASMSTART
	
             v_fmac_f32 v130, v228, v212 
             
	;;#ASMEND
	;;#ASMSTART
	
             v_fmac_f32 v133, v228, v213 
             
	;;#ASMEND
	;; [unrolled: 5-line block ×16, first 2 shown]
	ds_load_b128 v[212:215], v160 offset:17920
	;;#ASMSTART
	
             v_fmac_f32 v50, v228, v224 
             
	;;#ASMEND
	;;#ASMSTART
	
             v_fmac_f32 v51, v228, v225 
             
	;;#ASMEND
	;; [unrolled: 5-line block ×16, first 2 shown]
	ds_load_b128 v[224:227], v160 offset:18176
	ds_load_b128 v[228:231], v151 offset:1792
	s_waitcnt lgkmcnt(2)
	;;#ASMSTART
	
             v_fmac_f32 v149, v208, v212 
             
	;;#ASMEND
	;;#ASMSTART
	
             v_fmac_f32 v150, v208, v213 
             
	;;#ASMEND
	;; [unrolled: 5-line block ×16, first 2 shown]
	s_waitcnt lgkmcnt(1)
	;;#ASMSTART
	
             v_fmac_f32 v145, v208, v224 
             
	;;#ASMEND
	;;#ASMSTART
	
             v_fmac_f32 v146, v208, v225 
             
	;;#ASMEND
	;; [unrolled: 5-line block ×16, first 2 shown]
	ds_load_b128 v[208:211], v151 offset:2048
	s_waitcnt lgkmcnt(1)
	;;#ASMSTART
	
             v_fmac_f32 v130, v228, v212 
             
	;;#ASMEND
	;;#ASMSTART
	
             v_fmac_f32 v133, v228, v213 
             
	;;#ASMEND
	;; [unrolled: 5-line block ×16, first 2 shown]
	ds_load_b128 v[212:215], v160 offset:18432
	;;#ASMSTART
	
             v_fmac_f32 v50, v228, v224 
             
	;;#ASMEND
	;;#ASMSTART
	
             v_fmac_f32 v51, v228, v225 
             
	;;#ASMEND
	;; [unrolled: 5-line block ×16, first 2 shown]
	ds_load_b128 v[224:227], v160 offset:18688
	ds_load_b128 v[228:231], v151 offset:2304
	s_waitcnt lgkmcnt(2)
	;;#ASMSTART
	
             v_fmac_f32 v149, v208, v212 
             
	;;#ASMEND
	;;#ASMSTART
	
             v_fmac_f32 v150, v208, v213 
             
	;;#ASMEND
	;; [unrolled: 5-line block ×16, first 2 shown]
	s_waitcnt lgkmcnt(1)
	;;#ASMSTART
	
             v_fmac_f32 v145, v208, v224 
             
	;;#ASMEND
	;;#ASMSTART
	
             v_fmac_f32 v146, v208, v225 
             
	;;#ASMEND
	;; [unrolled: 5-line block ×16, first 2 shown]
	ds_load_b128 v[208:211], v151 offset:2560
	s_waitcnt lgkmcnt(1)
	;;#ASMSTART
	
             v_fmac_f32 v130, v228, v212 
             
	;;#ASMEND
	;;#ASMSTART
	
             v_fmac_f32 v133, v228, v213 
             
	;;#ASMEND
	;; [unrolled: 5-line block ×16, first 2 shown]
	ds_load_b128 v[212:215], v160 offset:18944
	;;#ASMSTART
	
             v_fmac_f32 v50, v228, v224 
             
	;;#ASMEND
	;;#ASMSTART
	
             v_fmac_f32 v51, v228, v225 
             
	;;#ASMEND
	;; [unrolled: 5-line block ×16, first 2 shown]
	ds_load_b128 v[224:227], v160 offset:19200
	ds_load_b128 v[228:231], v151 offset:2816
	s_waitcnt lgkmcnt(2)
	;;#ASMSTART
	
             v_fmac_f32 v149, v208, v212 
             
	;;#ASMEND
	;;#ASMSTART
	
             v_fmac_f32 v150, v208, v213 
             
	;;#ASMEND
	;; [unrolled: 5-line block ×16, first 2 shown]
	s_waitcnt lgkmcnt(1)
	;;#ASMSTART
	
             v_fmac_f32 v145, v208, v224 
             
	;;#ASMEND
	;;#ASMSTART
	
             v_fmac_f32 v146, v208, v225 
             
	;;#ASMEND
	;; [unrolled: 5-line block ×16, first 2 shown]
	ds_load_b128 v[208:211], v151 offset:3072
	s_waitcnt lgkmcnt(1)
	;;#ASMSTART
	
             v_fmac_f32 v130, v228, v212 
             
	;;#ASMEND
	;;#ASMSTART
	
             v_fmac_f32 v133, v228, v213 
             
	;;#ASMEND
	;; [unrolled: 5-line block ×16, first 2 shown]
	ds_load_b128 v[212:215], v160 offset:19456
	;;#ASMSTART
	
             v_fmac_f32 v50, v228, v224 
             
	;;#ASMEND
	;;#ASMSTART
	
             v_fmac_f32 v51, v228, v225 
             
	;;#ASMEND
	;; [unrolled: 5-line block ×16, first 2 shown]
	ds_load_b128 v[224:227], v160 offset:19712
	ds_load_b128 v[228:231], v151 offset:3328
	s_waitcnt lgkmcnt(2)
	;;#ASMSTART
	
             v_fmac_f32 v149, v208, v212 
             
	;;#ASMEND
	;;#ASMSTART
	
             v_fmac_f32 v150, v208, v213 
             
	;;#ASMEND
	;; [unrolled: 5-line block ×16, first 2 shown]
	s_waitcnt lgkmcnt(1)
	;;#ASMSTART
	
             v_fmac_f32 v145, v208, v224 
             
	;;#ASMEND
	;;#ASMSTART
	
             v_fmac_f32 v146, v208, v225 
             
	;;#ASMEND
	;;#ASMSTART
	
             v_fmac_f32 v31, v208, v226 
             
	;;#ASMEND
	;;#ASMSTART
	
             v_fmac_f32 v33, v208, v227 
             
	;;#ASMEND
	;;#ASMSTART
	
             v_fmac_f32 v81, v209, v224 
             
	;;#ASMEND
	;;#ASMSTART
	
             v_fmac_f32 v82, v209, v225 
             
	;;#ASMEND
	;;#ASMSTART
	
             v_fmac_f32 v71, v209, v226 
             
	;;#ASMEND
	;;#ASMSTART
	
             v_fmac_f32 v80, v209, v227 
             
	;;#ASMEND
	;;#ASMSTART
	
             v_fmac_f32 v5, v210, v224 
             
	;;#ASMEND
	;;#ASMSTART
	
             v_fmac_f32 v70, v210, v225 
             
	;;#ASMEND
	;;#ASMSTART
	
             v_fmac_f32 v68, v210, v226 
             
	;;#ASMEND
	;;#ASMSTART
	
             v_fmac_f32 v69, v210, v227 
             
	;;#ASMEND
	;;#ASMSTART
	
             v_fmac_f32 v87, v211, v224 
             
	;;#ASMEND
	;;#ASMSTART
	
             v_fmac_f32 v86, v211, v225 
             
	;;#ASMEND
	;;#ASMSTART
	
             v_fmac_f32 v84, v211, v226 
             
	;;#ASMEND
	;;#ASMSTART
	
             v_fmac_f32 v85, v211, v227 
             
	;;#ASMEND
	ds_load_b128 v[208:211], v151 offset:3584
	s_waitcnt lgkmcnt(1)
	;;#ASMSTART
	
             v_fmac_f32 v130, v228, v212 
             
	;;#ASMEND
	;;#ASMSTART
	
             v_fmac_f32 v133, v228, v213 
             
	;;#ASMEND
	;; [unrolled: 5-line block ×16, first 2 shown]
	ds_load_b128 v[212:215], v160 offset:19968
	;;#ASMSTART
	
             v_fmac_f32 v50, v228, v224 
             
	;;#ASMEND
	;;#ASMSTART
	
             v_fmac_f32 v51, v228, v225 
             
	;;#ASMEND
	;; [unrolled: 5-line block ×16, first 2 shown]
	ds_load_b128 v[224:227], v160 offset:20224
	ds_load_b128 v[228:231], v151 offset:3840
	s_waitcnt lgkmcnt(2)
	;;#ASMSTART
	
             v_fmac_f32 v149, v208, v212 
             
	;;#ASMEND
	;;#ASMSTART
	
             v_fmac_f32 v150, v208, v213 
             
	;;#ASMEND
	;;#ASMSTART
	
             v_fmac_f32 v147, v208, v214 
             
	;;#ASMEND
	;;#ASMSTART
	
             v_fmac_f32 v148, v208, v215 
             
	;;#ASMEND
	;;#ASMSTART
	
             v_fmac_f32 v144, v209, v212 
             
	;;#ASMEND
	;;#ASMSTART
	
             v_fmac_f32 v135, v209, v213 
             
	;;#ASMEND
	;;#ASMSTART
	
             v_fmac_f32 v134, v209, v214 
             
	;;#ASMEND
	;;#ASMSTART
	
             v_fmac_f32 v83, v209, v215 
             
	;;#ASMEND
	;;#ASMSTART
	
             v_fmac_f32 v55, v210, v212 
             
	;;#ASMEND
	;;#ASMSTART
	
             v_fmac_f32 v54, v210, v213 
             
	;;#ASMEND
	;;#ASMSTART
	
             v_fmac_f32 v53, v210, v214 
             
	;;#ASMEND
	;;#ASMSTART
	
             v_fmac_f32 v52, v210, v215 
             
	;;#ASMEND
	;;#ASMSTART
	
             v_fmac_f32 v37, v211, v212 
             
	;;#ASMEND
	;;#ASMSTART
	
             v_fmac_f32 v36, v211, v213 
             
	;;#ASMEND
	;;#ASMSTART
	
             v_fmac_f32 v35, v211, v214 
             
	;;#ASMEND
	;;#ASMSTART
	
             v_fmac_f32 v34, v211, v215 
             
	;;#ASMEND
	s_waitcnt lgkmcnt(1)
	;;#ASMSTART
	
             v_fmac_f32 v145, v208, v224 
             
	;;#ASMEND
	;;#ASMSTART
	
             v_fmac_f32 v146, v208, v225 
             
	;;#ASMEND
	;; [unrolled: 5-line block ×16, first 2 shown]
	ds_load_b128 v[208:211], v151 offset:4096
	s_waitcnt lgkmcnt(1)
	;;#ASMSTART
	
             v_fmac_f32 v130, v228, v212 
             
	;;#ASMEND
	;;#ASMSTART
	
             v_fmac_f32 v133, v228, v213 
             
	;;#ASMEND
	;; [unrolled: 5-line block ×16, first 2 shown]
	ds_load_b128 v[212:215], v160 offset:20480
	;;#ASMSTART
	
             v_fmac_f32 v50, v228, v224 
             
	;;#ASMEND
	;;#ASMSTART
	
             v_fmac_f32 v51, v228, v225 
             
	;;#ASMEND
	;; [unrolled: 5-line block ×16, first 2 shown]
	ds_load_b128 v[224:227], v160 offset:20736
	ds_load_b128 v[228:231], v151 offset:4352
	s_waitcnt lgkmcnt(2)
	;;#ASMSTART
	
             v_fmac_f32 v149, v208, v212 
             
	;;#ASMEND
	;;#ASMSTART
	
             v_fmac_f32 v150, v208, v213 
             
	;;#ASMEND
	;; [unrolled: 5-line block ×16, first 2 shown]
	s_waitcnt lgkmcnt(1)
	;;#ASMSTART
	
             v_fmac_f32 v145, v208, v224 
             
	;;#ASMEND
	;;#ASMSTART
	
             v_fmac_f32 v146, v208, v225 
             
	;;#ASMEND
	;; [unrolled: 5-line block ×16, first 2 shown]
	ds_load_b128 v[208:211], v151 offset:4608
	s_waitcnt lgkmcnt(1)
	;;#ASMSTART
	
             v_fmac_f32 v130, v228, v212 
             
	;;#ASMEND
	;;#ASMSTART
	
             v_fmac_f32 v133, v228, v213 
             
	;;#ASMEND
	;; [unrolled: 5-line block ×16, first 2 shown]
	ds_load_b128 v[212:215], v160 offset:20992
	;;#ASMSTART
	
             v_fmac_f32 v50, v228, v224 
             
	;;#ASMEND
	;;#ASMSTART
	
             v_fmac_f32 v51, v228, v225 
             
	;;#ASMEND
	;; [unrolled: 5-line block ×16, first 2 shown]
	ds_load_b128 v[224:227], v160 offset:21248
	ds_load_b128 v[228:231], v151 offset:4864
	s_waitcnt lgkmcnt(2)
	;;#ASMSTART
	
             v_fmac_f32 v149, v208, v212 
             
	;;#ASMEND
	;;#ASMSTART
	
             v_fmac_f32 v150, v208, v213 
             
	;;#ASMEND
	;; [unrolled: 5-line block ×16, first 2 shown]
	s_waitcnt lgkmcnt(1)
	;;#ASMSTART
	
             v_fmac_f32 v145, v208, v224 
             
	;;#ASMEND
	;;#ASMSTART
	
             v_fmac_f32 v146, v208, v225 
             
	;;#ASMEND
	;; [unrolled: 5-line block ×16, first 2 shown]
	ds_load_b128 v[208:211], v151 offset:5120
	s_waitcnt lgkmcnt(1)
	;;#ASMSTART
	
             v_fmac_f32 v130, v228, v212 
             
	;;#ASMEND
	;;#ASMSTART
	
             v_fmac_f32 v133, v228, v213 
             
	;;#ASMEND
	;; [unrolled: 5-line block ×16, first 2 shown]
	ds_load_b128 v[212:215], v160 offset:21504
	;;#ASMSTART
	
             v_fmac_f32 v50, v228, v224 
             
	;;#ASMEND
	;;#ASMSTART
	
             v_fmac_f32 v51, v228, v225 
             
	;;#ASMEND
	;; [unrolled: 5-line block ×16, first 2 shown]
	ds_load_b128 v[224:227], v160 offset:21760
	ds_load_b128 v[228:231], v151 offset:5376
	s_waitcnt lgkmcnt(2)
	;;#ASMSTART
	
             v_fmac_f32 v149, v208, v212 
             
	;;#ASMEND
	;;#ASMSTART
	
             v_fmac_f32 v150, v208, v213 
             
	;;#ASMEND
	;; [unrolled: 5-line block ×16, first 2 shown]
	s_waitcnt lgkmcnt(1)
	;;#ASMSTART
	
             v_fmac_f32 v145, v208, v224 
             
	;;#ASMEND
	;;#ASMSTART
	
             v_fmac_f32 v146, v208, v225 
             
	;;#ASMEND
	;; [unrolled: 5-line block ×16, first 2 shown]
	ds_load_b128 v[208:211], v151 offset:5632
	s_waitcnt lgkmcnt(1)
	;;#ASMSTART
	
             v_fmac_f32 v130, v228, v212 
             
	;;#ASMEND
	;;#ASMSTART
	
             v_fmac_f32 v133, v228, v213 
             
	;;#ASMEND
	;; [unrolled: 5-line block ×16, first 2 shown]
	ds_load_b128 v[212:215], v160 offset:22016
	;;#ASMSTART
	
             v_fmac_f32 v50, v228, v224 
             
	;;#ASMEND
	;;#ASMSTART
	
             v_fmac_f32 v51, v228, v225 
             
	;;#ASMEND
	;;#ASMSTART
	
             v_fmac_f32 v48, v228, v226 
             
	;;#ASMEND
	;;#ASMSTART
	
             v_fmac_f32 v49, v228, v227 
             
	;;#ASMEND
	;;#ASMSTART
	
             v_fmac_f32 v98, v229, v224 
             
	;;#ASMEND
	;;#ASMSTART
	
             v_fmac_f32 v99, v229, v225 
             
	;;#ASMEND
	;;#ASMSTART
	
             v_fmac_f32 v96, v229, v226 
             
	;;#ASMEND
	;;#ASMSTART
	
             v_fmac_f32 v97, v229, v227 
             
	;;#ASMEND
	;;#ASMSTART
	
             v_fmac_f32 v114, v230, v224 
             
	;;#ASMEND
	;;#ASMSTART
	
             v_fmac_f32 v115, v230, v225 
             
	;;#ASMEND
	;;#ASMSTART
	
             v_fmac_f32 v112, v230, v226 
             
	;;#ASMEND
	;;#ASMSTART
	
             v_fmac_f32 v113, v230, v227 
             
	;;#ASMEND
	;;#ASMSTART
	
             v_fmac_f32 v128, v231, v224 
             
	;;#ASMEND
	;;#ASMSTART
	
             v_fmac_f32 v38, v231, v225 
             
	;;#ASMEND
	;;#ASMSTART
	
             v_fmac_f32 v39, v231, v226 
             
	;;#ASMEND
	;;#ASMSTART
	
             v_fmac_f32 v129, v231, v227 
             
	;;#ASMEND
	ds_load_b128 v[224:227], v160 offset:22272
	ds_load_b128 v[228:231], v151 offset:5888
	s_waitcnt lgkmcnt(2)
	;;#ASMSTART
	
             v_fmac_f32 v149, v208, v212 
             
	;;#ASMEND
	;;#ASMSTART
	
             v_fmac_f32 v150, v208, v213 
             
	;;#ASMEND
	;; [unrolled: 5-line block ×16, first 2 shown]
	s_waitcnt lgkmcnt(1)
	;;#ASMSTART
	
             v_fmac_f32 v145, v208, v224 
             
	;;#ASMEND
	;;#ASMSTART
	
             v_fmac_f32 v146, v208, v225 
             
	;;#ASMEND
	;; [unrolled: 5-line block ×16, first 2 shown]
	ds_load_b128 v[208:211], v151 offset:6144
	s_waitcnt lgkmcnt(1)
	;;#ASMSTART
	
             v_fmac_f32 v130, v228, v212 
             
	;;#ASMEND
	;;#ASMSTART
	
             v_fmac_f32 v133, v228, v213 
             
	;;#ASMEND
	;; [unrolled: 5-line block ×16, first 2 shown]
	ds_load_b128 v[212:215], v160 offset:22528
	;;#ASMSTART
	
             v_fmac_f32 v50, v228, v224 
             
	;;#ASMEND
	;;#ASMSTART
	
             v_fmac_f32 v51, v228, v225 
             
	;;#ASMEND
	;; [unrolled: 5-line block ×16, first 2 shown]
	ds_load_b128 v[224:227], v160 offset:22784
	ds_load_b128 v[228:231], v151 offset:6400
	s_waitcnt lgkmcnt(2)
	;;#ASMSTART
	
             v_fmac_f32 v149, v208, v212 
             
	;;#ASMEND
	;;#ASMSTART
	
             v_fmac_f32 v150, v208, v213 
             
	;;#ASMEND
	;; [unrolled: 5-line block ×16, first 2 shown]
	s_waitcnt lgkmcnt(1)
	;;#ASMSTART
	
             v_fmac_f32 v145, v208, v224 
             
	;;#ASMEND
	;;#ASMSTART
	
             v_fmac_f32 v146, v208, v225 
             
	;;#ASMEND
	;; [unrolled: 5-line block ×16, first 2 shown]
	ds_load_b128 v[208:211], v151 offset:6656
	s_waitcnt lgkmcnt(1)
	;;#ASMSTART
	
             v_fmac_f32 v130, v228, v212 
             
	;;#ASMEND
	;;#ASMSTART
	
             v_fmac_f32 v133, v228, v213 
             
	;;#ASMEND
	;;#ASMSTART
	
             v_fmac_f32 v132, v228, v214 
             
	;;#ASMEND
	;;#ASMSTART
	
             v_fmac_f32 v131, v228, v215 
             
	;;#ASMEND
	;;#ASMSTART
	
             v_fmac_f32 v67, v229, v212 
             
	;;#ASMEND
	;;#ASMSTART
	
             v_fmac_f32 v66, v229, v213 
             
	;;#ASMEND
	;;#ASMSTART
	
             v_fmac_f32 v65, v229, v214 
             
	;;#ASMEND
	;;#ASMSTART
	
             v_fmac_f32 v64, v229, v215 
             
	;;#ASMEND
	;;#ASMSTART
	
             v_fmac_f32 v103, v230, v212 
             
	;;#ASMEND
	;;#ASMSTART
	
             v_fmac_f32 v102, v230, v213 
             
	;;#ASMEND
	;;#ASMSTART
	
             v_fmac_f32 v101, v230, v214 
             
	;;#ASMEND
	;;#ASMSTART
	
             v_fmac_f32 v100, v230, v215 
             
	;;#ASMEND
	;;#ASMSTART
	
             v_fmac_f32 v119, v231, v212 
             
	;;#ASMEND
	;;#ASMSTART
	
             v_fmac_f32 v118, v231, v213 
             
	;;#ASMEND
	;;#ASMSTART
	
             v_fmac_f32 v116, v231, v214 
             
	;;#ASMEND
	;;#ASMSTART
	
             v_fmac_f32 v117, v231, v215 
             
	;;#ASMEND
	ds_load_b128 v[212:215], v160 offset:23040
	;;#ASMSTART
	
             v_fmac_f32 v50, v228, v224 
             
	;;#ASMEND
	;;#ASMSTART
	
             v_fmac_f32 v51, v228, v225 
             
	;;#ASMEND
	;; [unrolled: 5-line block ×16, first 2 shown]
	ds_load_b128 v[224:227], v160 offset:23296
	ds_load_b128 v[228:231], v151 offset:6912
	s_waitcnt lgkmcnt(2)
	;;#ASMSTART
	
             v_fmac_f32 v149, v208, v212 
             
	;;#ASMEND
	;;#ASMSTART
	
             v_fmac_f32 v150, v208, v213 
             
	;;#ASMEND
	;; [unrolled: 5-line block ×16, first 2 shown]
	s_waitcnt lgkmcnt(1)
	;;#ASMSTART
	
             v_fmac_f32 v145, v208, v224 
             
	;;#ASMEND
	;;#ASMSTART
	
             v_fmac_f32 v146, v208, v225 
             
	;;#ASMEND
	;; [unrolled: 5-line block ×16, first 2 shown]
	ds_load_b128 v[208:211], v151 offset:7168
	s_waitcnt lgkmcnt(1)
	;;#ASMSTART
	
             v_fmac_f32 v130, v228, v212 
             
	;;#ASMEND
	;;#ASMSTART
	
             v_fmac_f32 v133, v228, v213 
             
	;;#ASMEND
	;; [unrolled: 5-line block ×16, first 2 shown]
	ds_load_b128 v[212:215], v160 offset:23552
	;;#ASMSTART
	
             v_fmac_f32 v50, v228, v224 
             
	;;#ASMEND
	;;#ASMSTART
	
             v_fmac_f32 v51, v228, v225 
             
	;;#ASMEND
	;;#ASMSTART
	
             v_fmac_f32 v48, v228, v226 
             
	;;#ASMEND
	;;#ASMSTART
	
             v_fmac_f32 v49, v228, v227 
             
	;;#ASMEND
	;;#ASMSTART
	
             v_fmac_f32 v98, v229, v224 
             
	;;#ASMEND
	;;#ASMSTART
	
             v_fmac_f32 v99, v229, v225 
             
	;;#ASMEND
	;;#ASMSTART
	
             v_fmac_f32 v96, v229, v226 
             
	;;#ASMEND
	;;#ASMSTART
	
             v_fmac_f32 v97, v229, v227 
             
	;;#ASMEND
	;;#ASMSTART
	
             v_fmac_f32 v114, v230, v224 
             
	;;#ASMEND
	;;#ASMSTART
	
             v_fmac_f32 v115, v230, v225 
             
	;;#ASMEND
	;;#ASMSTART
	
             v_fmac_f32 v112, v230, v226 
             
	;;#ASMEND
	;;#ASMSTART
	
             v_fmac_f32 v113, v230, v227 
             
	;;#ASMEND
	;;#ASMSTART
	
             v_fmac_f32 v128, v231, v224 
             
	;;#ASMEND
	;;#ASMSTART
	
             v_fmac_f32 v38, v231, v225 
             
	;;#ASMEND
	;;#ASMSTART
	
             v_fmac_f32 v39, v231, v226 
             
	;;#ASMEND
	;;#ASMSTART
	
             v_fmac_f32 v129, v231, v227 
             
	;;#ASMEND
	ds_load_b128 v[224:227], v160 offset:23808
	ds_load_b128 v[228:231], v151 offset:7424
	s_waitcnt lgkmcnt(2)
	;;#ASMSTART
	
             v_fmac_f32 v149, v208, v212 
             
	;;#ASMEND
	;;#ASMSTART
	
             v_fmac_f32 v150, v208, v213 
             
	;;#ASMEND
	;; [unrolled: 5-line block ×16, first 2 shown]
	s_waitcnt lgkmcnt(1)
	;;#ASMSTART
	
             v_fmac_f32 v145, v208, v224 
             
	;;#ASMEND
	;;#ASMSTART
	
             v_fmac_f32 v146, v208, v225 
             
	;;#ASMEND
	;; [unrolled: 5-line block ×16, first 2 shown]
	ds_load_b128 v[208:211], v151 offset:7680
	s_waitcnt lgkmcnt(1)
	;;#ASMSTART
	
             v_fmac_f32 v130, v228, v212 
             
	;;#ASMEND
	;;#ASMSTART
	
             v_fmac_f32 v133, v228, v213 
             
	;;#ASMEND
	;; [unrolled: 5-line block ×16, first 2 shown]
	ds_load_b128 v[212:215], v160 offset:24064
	;;#ASMSTART
	
             v_fmac_f32 v50, v228, v224 
             
	;;#ASMEND
	;;#ASMSTART
	
             v_fmac_f32 v51, v228, v225 
             
	;;#ASMEND
	;; [unrolled: 5-line block ×16, first 2 shown]
	ds_load_b128 v[224:227], v160 offset:24320
	ds_load_b128 v[228:231], v151 offset:7936
	s_waitcnt lgkmcnt(2)
	;;#ASMSTART
	
             v_fmac_f32 v149, v208, v212 
             
	;;#ASMEND
	;;#ASMSTART
	
             v_fmac_f32 v150, v208, v213 
             
	;;#ASMEND
	;; [unrolled: 5-line block ×16, first 2 shown]
	s_waitcnt lgkmcnt(1)
	;;#ASMSTART
	
             v_fmac_f32 v145, v208, v224 
             
	;;#ASMEND
	;;#ASMSTART
	
             v_fmac_f32 v146, v208, v225 
             
	;;#ASMEND
	;; [unrolled: 5-line block ×16, first 2 shown]
	s_waitcnt lgkmcnt(0)
	;;#ASMSTART
	
             v_fmac_f32 v130, v228, v212 
             
	;;#ASMEND
	;;#ASMSTART
	
             v_fmac_f32 v133, v228, v213 
             
	;;#ASMEND
	;; [unrolled: 5-line block ×32, first 2 shown]
	s_clause 0x4
	flat_load_b32 v208, v[8:9] offset:156
	flat_load_b32 v210, v[8:9] offset:108
	;; [unrolled: 1-line block ×5, first 2 shown]
	ds_store_2addr_stride64_b32 v165, v29, v28 offset0:2 offset1:4
	ds_store_2addr_stride64_b32 v165, v25, v195 offset0:6 offset1:8
	;; [unrolled: 1-line block ×7, first 2 shown]
	flat_load_b64 v[28:29], v[8:9] offset:16
	ds_store_b32 v165, v182 offset:3584
	ds_store_b32 v166, v23 offset:3584
	flat_load_b32 v196, v[10:11] offset:48
	s_clause 0x2
	flat_load_b96 v[23:25], v[8:9] offset:28
	flat_load_b32 v182, v[8:9] offset:140
	flat_load_b32 v20, v[8:9] offset:128
	s_waitcnt vmcnt(9) lgkmcnt(18)
	v_mul_lo_u32 v21, v208, 12
	s_waitcnt vmcnt(2) lgkmcnt(2)
	v_sub_nc_u32_e32 v193, v23, v25
	s_delay_alu instid0(VALU_DEP_2) | instskip(SKIP_3) | instid1(VALU_DEP_3)
	v_add_nc_u32_e32 v177, v21, v177
	v_add_nc_u32_e32 v198, v21, v179
	s_waitcnt vmcnt(0) lgkmcnt(0)
	v_cmp_lt_i32_e32 vcc_lo, v161, v20
	v_mul_hi_u32 v22, v177, v210
	s_delay_alu instid0(VALU_DEP_3) | instskip(NEXT) | instid1(VALU_DEP_2)
	v_cmp_lt_i32_e64 s2, v198, v182
	v_add_nc_u32_e32 v22, v177, v22
	s_delay_alu instid0(VALU_DEP_1) | instskip(NEXT) | instid1(VALU_DEP_1)
	v_lshrrev_b32_e32 v194, v209, v22
	v_mul_lo_u32 v22, v194, v211
	v_sub_nc_u32_e32 v176, v194, v176
	s_delay_alu instid0(VALU_DEP_2) | instskip(NEXT) | instid1(VALU_DEP_2)
	v_sub_nc_u32_e32 v195, v177, v22
	v_mul_lo_u32 v22, v176, v212
	s_delay_alu instid0(VALU_DEP_2) | instskip(SKIP_1) | instid1(VALU_DEP_3)
	v_sub_nc_u32_e32 v176, v195, v178
	v_mul_lo_u32 v178, v196, 12
	v_add_nc_u32_e32 v180, v22, v180
	v_mul_lo_u32 v22, v22, v28
	s_delay_alu instid0(VALU_DEP_4) | instskip(NEXT) | instid1(VALU_DEP_3)
	v_mul_lo_u32 v176, v176, v29
	v_cmp_le_i32_e64 s0, v24, v180
	v_cmp_gt_i32_e64 s1, v193, v180
	v_add_nc_u32_e32 v25, v178, v192
	v_add_nc_u32_e32 v197, v178, v183
	v_add3_u32 v179, v22, v181, v176
	s_delay_alu instid0(VALU_DEP_4) | instskip(NEXT) | instid1(SALU_CYCLE_1)
	s_and_b32 s0, s0, s1
	s_and_b32 s0, s2, s0
	s_delay_alu instid0(VALU_DEP_1)
	v_lshlrev_b32_e32 v176, 2, v179
	s_and_b32 s0, vcc_lo, s0
.LBB3_18:                               ;   Parent Loop BB3_9 Depth=1
                                        ; =>  This Inner Loop Header: Depth=2
	v_readfirstlane_b32 s4, v0
	v_readfirstlane_b32 s5, v1
	;; [unrolled: 1-line block ×4, first 2 shown]
	s_delay_alu instid0(VALU_DEP_3) | instskip(NEXT) | instid1(VALU_DEP_2)
	v_cmp_eq_u64_e64 s1, s[4:5], v[0:1]
	v_cmp_eq_u64_e64 s2, s[6:7], v[16:17]
	s_delay_alu instid0(VALU_DEP_1) | instskip(NEXT) | instid1(SALU_CYCLE_1)
	s_and_b32 s1, s1, s2
	s_and_saveexec_b32 s1, s1
	buffer_load_b128 v[20:23], v176, s[4:7], 0 offen
                                        ; implicit-def: $vgpr176
	s_xor_b32 exec_lo, exec_lo, s1
	s_cbranch_execnz .LBB3_18
; %bb.19:                               ;   in Loop: Header=BB3_9 Depth=1
	s_mov_b32 exec_lo, s3
	v_lshlrev_b32_e32 v181, 2, v208
	s_delay_alu instid0(VALU_DEP_1) | instskip(NEXT) | instid1(VALU_DEP_1)
	v_add_nc_u32_e32 v177, v181, v177
	v_mul_hi_u32 v176, v177, v210
	s_delay_alu instid0(VALU_DEP_1) | instskip(NEXT) | instid1(VALU_DEP_1)
	v_add_nc_u32_e32 v176, v177, v176
	v_lshrrev_b32_e32 v176, v209, v176
	s_delay_alu instid0(VALU_DEP_1) | instskip(SKIP_1) | instid1(VALU_DEP_1)
	v_mul_lo_u32 v178, v176, v211
	v_sub_nc_u32_e32 v183, v176, v194
	v_mul_lo_u32 v183, v183, v212
	s_delay_alu instid0(VALU_DEP_3) | instskip(NEXT) | instid1(VALU_DEP_1)
	v_sub_nc_u32_e32 v178, v177, v178
	v_sub_nc_u32_e32 v192, v178, v195
	s_delay_alu instid0(VALU_DEP_3)
	v_mul_lo_u32 v194, v183, v28
	v_add_nc_u32_e32 v28, v183, v180
	s_waitcnt vmcnt(0)
	v_cndmask_b32_e64 v180, 0, v23, s0
	v_cndmask_b32_e64 v183, 0, v20, s0
	v_mul_lo_u32 v192, v192, v29
	v_add_nc_u32_e32 v29, v181, v198
	v_cmp_le_i32_e64 s1, v24, v28
	v_cmp_gt_i32_e64 s2, v193, v28
	v_cndmask_b32_e64 v181, 0, v22, s0
	s_delay_alu instid0(VALU_DEP_4)
	v_cmp_lt_i32_e64 s3, v29, v182
	v_cndmask_b32_e64 v182, 0, v21, s0
	v_add3_u32 v24, v194, v179, v192
	s_and_b32 s0, s1, s2
	s_mov_b32 s2, exec_lo
	s_and_b32 s0, s3, s0
	s_delay_alu instid0(SALU_CYCLE_1)
	s_and_b32 s0, vcc_lo, s0
	v_lshlrev_b32_e32 v179, 2, v24
.LBB3_20:                               ;   Parent Loop BB3_9 Depth=1
                                        ; =>  This Inner Loop Header: Depth=2
	v_readfirstlane_b32 s4, v0
	v_readfirstlane_b32 s5, v1
	;; [unrolled: 1-line block ×4, first 2 shown]
	s_delay_alu instid0(VALU_DEP_3) | instskip(NEXT) | instid1(VALU_DEP_2)
	v_cmp_eq_u64_e32 vcc_lo, s[4:5], v[0:1]
	v_cmp_eq_u64_e64 s1, s[6:7], v[16:17]
	s_delay_alu instid0(VALU_DEP_1) | instskip(NEXT) | instid1(SALU_CYCLE_1)
	s_and_b32 s1, vcc_lo, s1
	s_and_saveexec_b32 s1, s1
	buffer_load_b128 v[20:23], v179, s[4:7], 0 offen
                                        ; implicit-def: $vgpr179
	s_xor_b32 exec_lo, exec_lo, s1
	s_cbranch_execnz .LBB3_20
; %bb.21:                               ;   in Loop: Header=BB3_9 Depth=1
	s_mov_b32 exec_lo, s2
	s_clause 0x1
	flat_load_b32 v198, v[10:11] offset:32
	flat_load_b32 v179, v[10:11] offset:20
	s_waitcnt vmcnt(2)
	v_cndmask_b32_e64 v192, 0, v23, s0
	v_cndmask_b32_e64 v193, 0, v22, s0
	;; [unrolled: 1-line block ×4, first 2 shown]
	s_mov_b32 s3, exec_lo
	s_waitcnt vmcnt(1) lgkmcnt(1)
	v_cmp_gt_i32_e64 s1, v198, v25
	s_waitcnt vmcnt(0) lgkmcnt(0)
	v_cmp_gt_i32_e32 vcc_lo, v179, v162
	v_lshlrev_b32_e32 v179, 2, v197
	s_delay_alu instid0(VALU_DEP_3)
	s_and_b32 s0, vcc_lo, s1
.LBB3_22:                               ;   Parent Loop BB3_9 Depth=1
                                        ; =>  This Inner Loop Header: Depth=2
	v_readfirstlane_b32 s4, v2
	v_readfirstlane_b32 s5, v3
	;; [unrolled: 1-line block ×4, first 2 shown]
	s_delay_alu instid0(VALU_DEP_3) | instskip(NEXT) | instid1(VALU_DEP_2)
	v_cmp_eq_u64_e64 s1, s[4:5], v[2:3]
	v_cmp_eq_u64_e64 s2, s[6:7], v[26:27]
	s_delay_alu instid0(VALU_DEP_1) | instskip(NEXT) | instid1(SALU_CYCLE_1)
	s_and_b32 s1, s1, s2
	s_and_saveexec_b32 s1, s1
	buffer_load_b128 v[20:23], v179, s[4:7], 0 offen
                                        ; implicit-def: $vgpr179
	s_xor_b32 exec_lo, exec_lo, s1
	s_cbranch_execnz .LBB3_22
; %bb.23:                               ;   in Loop: Header=BB3_9 Depth=1
	s_mov_b32 exec_lo, s3
	v_lshlrev_b32_e32 v199, 2, v196
	s_waitcnt vmcnt(0)
	v_cndmask_b32_e64 v196, 0, v23, s0
	s_mov_b32 s2, exec_lo
	s_delay_alu instid0(VALU_DEP_2) | instskip(SKIP_3) | instid1(VALU_DEP_4)
	v_add_nc_u32_e32 v179, v199, v25
	v_add_nc_u32_e32 v25, v199, v197
	v_cndmask_b32_e64 v197, 0, v22, s0
	v_cndmask_b32_e64 v199, 0, v21, s0
	v_cmp_gt_i32_e64 s1, v198, v179
	v_cndmask_b32_e64 v198, 0, v20, s0
	v_lshlrev_b32_e32 v208, 2, v25
	s_delay_alu instid0(VALU_DEP_3)
	s_and_b32 vcc_lo, vcc_lo, s1
.LBB3_24:                               ;   Parent Loop BB3_9 Depth=1
                                        ; =>  This Inner Loop Header: Depth=2
	v_readfirstlane_b32 s4, v2
	v_readfirstlane_b32 s5, v3
	;; [unrolled: 1-line block ×4, first 2 shown]
	s_delay_alu instid0(VALU_DEP_3) | instskip(NEXT) | instid1(VALU_DEP_2)
	v_cmp_eq_u64_e64 s0, s[4:5], v[2:3]
	v_cmp_eq_u64_e64 s1, s[6:7], v[26:27]
	s_delay_alu instid0(VALU_DEP_1) | instskip(NEXT) | instid1(SALU_CYCLE_1)
	s_and_b32 s0, s0, s1
	s_and_saveexec_b32 s0, s0
	buffer_load_b128 v[20:23], v208, s[4:7], 0 offen
                                        ; implicit-def: $vgpr208
	s_xor_b32 exec_lo, exec_lo, s0
	s_cbranch_execnz .LBB3_24
; %bb.25:                               ;   in Loop: Header=BB3_9 Depth=1
	s_mov_b32 exec_lo, s2
	s_waitcnt vmcnt(0) lgkmcnt(0)
	s_barrier
	ds_load_b128 v[208:211], v151 offset:8192
	ds_load_b128 v[212:215], v160 offset:24576
	;; [unrolled: 1-line block ×4, first 2 shown]
	s_add_i32 s11, s11, 32
	v_dual_cndmask_b32 v240, 0, v23 :: v_dual_cndmask_b32 v241, 0, v22
	s_waitcnt lgkmcnt(2)
	;;#ASMSTART
	
             v_fmac_f32 v149, v208, v212 
             
	;;#ASMEND
	;;#ASMSTART
	
             v_fmac_f32 v150, v208, v213 
             
	;;#ASMEND
	;; [unrolled: 5-line block ×16, first 2 shown]
	s_waitcnt lgkmcnt(1)
	;;#ASMSTART
	
             v_fmac_f32 v145, v208, v224 
             
	;;#ASMEND
	;;#ASMSTART
	
             v_fmac_f32 v146, v208, v225 
             
	;;#ASMEND
	;; [unrolled: 5-line block ×16, first 2 shown]
	ds_load_b128 v[208:211], v151 offset:8704
	s_waitcnt lgkmcnt(1)
	;;#ASMSTART
	
             v_fmac_f32 v130, v228, v212 
             
	;;#ASMEND
	;;#ASMSTART
	
             v_fmac_f32 v133, v228, v213 
             
	;;#ASMEND
	;; [unrolled: 5-line block ×16, first 2 shown]
	ds_load_b128 v[212:215], v160 offset:25088
	;;#ASMSTART
	
             v_fmac_f32 v50, v228, v224 
             
	;;#ASMEND
	;;#ASMSTART
	
             v_fmac_f32 v51, v228, v225 
             
	;;#ASMEND
	;; [unrolled: 5-line block ×16, first 2 shown]
	ds_load_b128 v[224:227], v160 offset:25344
	ds_load_b128 v[228:231], v151 offset:8960
	s_waitcnt lgkmcnt(2)
	;;#ASMSTART
	
             v_fmac_f32 v149, v208, v212 
             
	;;#ASMEND
	;;#ASMSTART
	
             v_fmac_f32 v150, v208, v213 
             
	;;#ASMEND
	;; [unrolled: 5-line block ×16, first 2 shown]
	s_waitcnt lgkmcnt(1)
	;;#ASMSTART
	
             v_fmac_f32 v145, v208, v224 
             
	;;#ASMEND
	;;#ASMSTART
	
             v_fmac_f32 v146, v208, v225 
             
	;;#ASMEND
	;; [unrolled: 5-line block ×16, first 2 shown]
	ds_load_b128 v[208:211], v151 offset:9216
	s_waitcnt lgkmcnt(1)
	;;#ASMSTART
	
             v_fmac_f32 v130, v228, v212 
             
	;;#ASMEND
	;;#ASMSTART
	
             v_fmac_f32 v133, v228, v213 
             
	;;#ASMEND
	;; [unrolled: 5-line block ×16, first 2 shown]
	ds_load_b128 v[212:215], v160 offset:25600
	;;#ASMSTART
	
             v_fmac_f32 v50, v228, v224 
             
	;;#ASMEND
	;;#ASMSTART
	
             v_fmac_f32 v51, v228, v225 
             
	;;#ASMEND
	;; [unrolled: 5-line block ×16, first 2 shown]
	ds_load_b128 v[224:227], v160 offset:25856
	ds_load_b128 v[228:231], v151 offset:9472
	s_waitcnt lgkmcnt(2)
	;;#ASMSTART
	
             v_fmac_f32 v149, v208, v212 
             
	;;#ASMEND
	;;#ASMSTART
	
             v_fmac_f32 v150, v208, v213 
             
	;;#ASMEND
	;;#ASMSTART
	
             v_fmac_f32 v147, v208, v214 
             
	;;#ASMEND
	;;#ASMSTART
	
             v_fmac_f32 v148, v208, v215 
             
	;;#ASMEND
	;;#ASMSTART
	
             v_fmac_f32 v144, v209, v212 
             
	;;#ASMEND
	;;#ASMSTART
	
             v_fmac_f32 v135, v209, v213 
             
	;;#ASMEND
	;;#ASMSTART
	
             v_fmac_f32 v134, v209, v214 
             
	;;#ASMEND
	;;#ASMSTART
	
             v_fmac_f32 v83, v209, v215 
             
	;;#ASMEND
	;;#ASMSTART
	
             v_fmac_f32 v55, v210, v212 
             
	;;#ASMEND
	;;#ASMSTART
	
             v_fmac_f32 v54, v210, v213 
             
	;;#ASMEND
	;;#ASMSTART
	
             v_fmac_f32 v53, v210, v214 
             
	;;#ASMEND
	;;#ASMSTART
	
             v_fmac_f32 v52, v210, v215 
             
	;;#ASMEND
	;;#ASMSTART
	
             v_fmac_f32 v37, v211, v212 
             
	;;#ASMEND
	;;#ASMSTART
	
             v_fmac_f32 v36, v211, v213 
             
	;;#ASMEND
	;;#ASMSTART
	
             v_fmac_f32 v35, v211, v214 
             
	;;#ASMEND
	;;#ASMSTART
	
             v_fmac_f32 v34, v211, v215 
             
	;;#ASMEND
	s_waitcnt lgkmcnt(1)
	;;#ASMSTART
	
             v_fmac_f32 v145, v208, v224 
             
	;;#ASMEND
	;;#ASMSTART
	
             v_fmac_f32 v146, v208, v225 
             
	;;#ASMEND
	;; [unrolled: 5-line block ×16, first 2 shown]
	ds_load_b128 v[208:211], v151 offset:9728
	s_waitcnt lgkmcnt(1)
	;;#ASMSTART
	
             v_fmac_f32 v130, v228, v212 
             
	;;#ASMEND
	;;#ASMSTART
	
             v_fmac_f32 v133, v228, v213 
             
	;;#ASMEND
	;; [unrolled: 5-line block ×16, first 2 shown]
	ds_load_b128 v[212:215], v160 offset:26112
	;;#ASMSTART
	
             v_fmac_f32 v50, v228, v224 
             
	;;#ASMEND
	;;#ASMSTART
	
             v_fmac_f32 v51, v228, v225 
             
	;;#ASMEND
	;; [unrolled: 5-line block ×16, first 2 shown]
	ds_load_b128 v[224:227], v160 offset:26368
	ds_load_b128 v[228:231], v151 offset:9984
	s_waitcnt lgkmcnt(2)
	;;#ASMSTART
	
             v_fmac_f32 v149, v208, v212 
             
	;;#ASMEND
	;;#ASMSTART
	
             v_fmac_f32 v150, v208, v213 
             
	;;#ASMEND
	;; [unrolled: 5-line block ×16, first 2 shown]
	s_waitcnt lgkmcnt(1)
	;;#ASMSTART
	
             v_fmac_f32 v145, v208, v224 
             
	;;#ASMEND
	;;#ASMSTART
	
             v_fmac_f32 v146, v208, v225 
             
	;;#ASMEND
	;; [unrolled: 5-line block ×16, first 2 shown]
	ds_load_b128 v[208:211], v151 offset:10240
	s_waitcnt lgkmcnt(1)
	;;#ASMSTART
	
             v_fmac_f32 v130, v228, v212 
             
	;;#ASMEND
	;;#ASMSTART
	
             v_fmac_f32 v133, v228, v213 
             
	;;#ASMEND
	;; [unrolled: 5-line block ×16, first 2 shown]
	ds_load_b128 v[212:215], v160 offset:26624
	;;#ASMSTART
	
             v_fmac_f32 v50, v228, v224 
             
	;;#ASMEND
	;;#ASMSTART
	
             v_fmac_f32 v51, v228, v225 
             
	;;#ASMEND
	;; [unrolled: 5-line block ×16, first 2 shown]
	ds_load_b128 v[224:227], v160 offset:26880
	ds_load_b128 v[228:231], v151 offset:10496
	s_waitcnt lgkmcnt(2)
	;;#ASMSTART
	
             v_fmac_f32 v149, v208, v212 
             
	;;#ASMEND
	;;#ASMSTART
	
             v_fmac_f32 v150, v208, v213 
             
	;;#ASMEND
	;; [unrolled: 5-line block ×16, first 2 shown]
	s_waitcnt lgkmcnt(1)
	;;#ASMSTART
	
             v_fmac_f32 v145, v208, v224 
             
	;;#ASMEND
	;;#ASMSTART
	
             v_fmac_f32 v146, v208, v225 
             
	;;#ASMEND
	;; [unrolled: 5-line block ×16, first 2 shown]
	ds_load_b128 v[208:211], v151 offset:10752
	s_waitcnt lgkmcnt(1)
	;;#ASMSTART
	
             v_fmac_f32 v130, v228, v212 
             
	;;#ASMEND
	;;#ASMSTART
	
             v_fmac_f32 v133, v228, v213 
             
	;;#ASMEND
	;; [unrolled: 5-line block ×16, first 2 shown]
	ds_load_b128 v[212:215], v160 offset:27136
	;;#ASMSTART
	
             v_fmac_f32 v50, v228, v224 
             
	;;#ASMEND
	;;#ASMSTART
	
             v_fmac_f32 v51, v228, v225 
             
	;;#ASMEND
	;; [unrolled: 5-line block ×16, first 2 shown]
	ds_load_b128 v[224:227], v160 offset:27392
	ds_load_b128 v[228:231], v151 offset:11008
	s_waitcnt lgkmcnt(2)
	;;#ASMSTART
	
             v_fmac_f32 v149, v208, v212 
             
	;;#ASMEND
	;;#ASMSTART
	
             v_fmac_f32 v150, v208, v213 
             
	;;#ASMEND
	;; [unrolled: 5-line block ×16, first 2 shown]
	s_waitcnt lgkmcnt(1)
	;;#ASMSTART
	
             v_fmac_f32 v145, v208, v224 
             
	;;#ASMEND
	;;#ASMSTART
	
             v_fmac_f32 v146, v208, v225 
             
	;;#ASMEND
	;; [unrolled: 5-line block ×16, first 2 shown]
	ds_load_b128 v[208:211], v151 offset:11264
	s_waitcnt lgkmcnt(1)
	;;#ASMSTART
	
             v_fmac_f32 v130, v228, v212 
             
	;;#ASMEND
	;;#ASMSTART
	
             v_fmac_f32 v133, v228, v213 
             
	;;#ASMEND
	;;#ASMSTART
	
             v_fmac_f32 v132, v228, v214 
             
	;;#ASMEND
	;;#ASMSTART
	
             v_fmac_f32 v131, v228, v215 
             
	;;#ASMEND
	;;#ASMSTART
	
             v_fmac_f32 v67, v229, v212 
             
	;;#ASMEND
	;;#ASMSTART
	
             v_fmac_f32 v66, v229, v213 
             
	;;#ASMEND
	;;#ASMSTART
	
             v_fmac_f32 v65, v229, v214 
             
	;;#ASMEND
	;;#ASMSTART
	
             v_fmac_f32 v64, v229, v215 
             
	;;#ASMEND
	;;#ASMSTART
	
             v_fmac_f32 v103, v230, v212 
             
	;;#ASMEND
	;;#ASMSTART
	
             v_fmac_f32 v102, v230, v213 
             
	;;#ASMEND
	;;#ASMSTART
	
             v_fmac_f32 v101, v230, v214 
             
	;;#ASMEND
	;;#ASMSTART
	
             v_fmac_f32 v100, v230, v215 
             
	;;#ASMEND
	;;#ASMSTART
	
             v_fmac_f32 v119, v231, v212 
             
	;;#ASMEND
	;;#ASMSTART
	
             v_fmac_f32 v118, v231, v213 
             
	;;#ASMEND
	;;#ASMSTART
	
             v_fmac_f32 v116, v231, v214 
             
	;;#ASMEND
	;;#ASMSTART
	
             v_fmac_f32 v117, v231, v215 
             
	;;#ASMEND
	ds_load_b128 v[212:215], v160 offset:27648
	;;#ASMSTART
	
             v_fmac_f32 v50, v228, v224 
             
	;;#ASMEND
	;;#ASMSTART
	
             v_fmac_f32 v51, v228, v225 
             
	;;#ASMEND
	;; [unrolled: 5-line block ×16, first 2 shown]
	ds_load_b128 v[224:227], v160 offset:27904
	ds_load_b128 v[228:231], v151 offset:11520
	s_waitcnt lgkmcnt(2)
	;;#ASMSTART
	
             v_fmac_f32 v149, v208, v212 
             
	;;#ASMEND
	;;#ASMSTART
	
             v_fmac_f32 v150, v208, v213 
             
	;;#ASMEND
	;; [unrolled: 5-line block ×16, first 2 shown]
	s_waitcnt lgkmcnt(1)
	;;#ASMSTART
	
             v_fmac_f32 v145, v208, v224 
             
	;;#ASMEND
	;;#ASMSTART
	
             v_fmac_f32 v146, v208, v225 
             
	;;#ASMEND
	;; [unrolled: 5-line block ×16, first 2 shown]
	ds_load_b128 v[208:211], v151 offset:11776
	s_waitcnt lgkmcnt(1)
	;;#ASMSTART
	
             v_fmac_f32 v130, v228, v212 
             
	;;#ASMEND
	;;#ASMSTART
	
             v_fmac_f32 v133, v228, v213 
             
	;;#ASMEND
	;; [unrolled: 5-line block ×16, first 2 shown]
	ds_load_b128 v[212:215], v160 offset:28160
	;;#ASMSTART
	
             v_fmac_f32 v50, v228, v224 
             
	;;#ASMEND
	;;#ASMSTART
	
             v_fmac_f32 v51, v228, v225 
             
	;;#ASMEND
	;;#ASMSTART
	
             v_fmac_f32 v48, v228, v226 
             
	;;#ASMEND
	;;#ASMSTART
	
             v_fmac_f32 v49, v228, v227 
             
	;;#ASMEND
	;;#ASMSTART
	
             v_fmac_f32 v98, v229, v224 
             
	;;#ASMEND
	;;#ASMSTART
	
             v_fmac_f32 v99, v229, v225 
             
	;;#ASMEND
	;;#ASMSTART
	
             v_fmac_f32 v96, v229, v226 
             
	;;#ASMEND
	;;#ASMSTART
	
             v_fmac_f32 v97, v229, v227 
             
	;;#ASMEND
	;;#ASMSTART
	
             v_fmac_f32 v114, v230, v224 
             
	;;#ASMEND
	;;#ASMSTART
	
             v_fmac_f32 v115, v230, v225 
             
	;;#ASMEND
	;;#ASMSTART
	
             v_fmac_f32 v112, v230, v226 
             
	;;#ASMEND
	;;#ASMSTART
	
             v_fmac_f32 v113, v230, v227 
             
	;;#ASMEND
	;;#ASMSTART
	
             v_fmac_f32 v128, v231, v224 
             
	;;#ASMEND
	;;#ASMSTART
	
             v_fmac_f32 v38, v231, v225 
             
	;;#ASMEND
	;;#ASMSTART
	
             v_fmac_f32 v39, v231, v226 
             
	;;#ASMEND
	;;#ASMSTART
	
             v_fmac_f32 v129, v231, v227 
             
	;;#ASMEND
	ds_load_b128 v[224:227], v160 offset:28416
	ds_load_b128 v[228:231], v151 offset:12032
	s_waitcnt lgkmcnt(2)
	;;#ASMSTART
	
             v_fmac_f32 v149, v208, v212 
             
	;;#ASMEND
	;;#ASMSTART
	
             v_fmac_f32 v150, v208, v213 
             
	;;#ASMEND
	;; [unrolled: 5-line block ×16, first 2 shown]
	s_waitcnt lgkmcnt(1)
	;;#ASMSTART
	
             v_fmac_f32 v145, v208, v224 
             
	;;#ASMEND
	;;#ASMSTART
	
             v_fmac_f32 v146, v208, v225 
             
	;;#ASMEND
	;; [unrolled: 5-line block ×16, first 2 shown]
	ds_load_b128 v[208:211], v151 offset:12288
	s_waitcnt lgkmcnt(1)
	;;#ASMSTART
	
             v_fmac_f32 v130, v228, v212 
             
	;;#ASMEND
	;;#ASMSTART
	
             v_fmac_f32 v133, v228, v213 
             
	;;#ASMEND
	;; [unrolled: 5-line block ×16, first 2 shown]
	ds_load_b128 v[212:215], v160 offset:28672
	;;#ASMSTART
	
             v_fmac_f32 v50, v228, v224 
             
	;;#ASMEND
	;;#ASMSTART
	
             v_fmac_f32 v51, v228, v225 
             
	;;#ASMEND
	;; [unrolled: 5-line block ×16, first 2 shown]
	ds_load_b128 v[224:227], v160 offset:28928
	ds_load_b128 v[228:231], v151 offset:12544
	s_waitcnt lgkmcnt(2)
	;;#ASMSTART
	
             v_fmac_f32 v149, v208, v212 
             
	;;#ASMEND
	;;#ASMSTART
	
             v_fmac_f32 v150, v208, v213 
             
	;;#ASMEND
	;; [unrolled: 5-line block ×16, first 2 shown]
	s_waitcnt lgkmcnt(1)
	;;#ASMSTART
	
             v_fmac_f32 v145, v208, v224 
             
	;;#ASMEND
	;;#ASMSTART
	
             v_fmac_f32 v146, v208, v225 
             
	;;#ASMEND
	;; [unrolled: 5-line block ×16, first 2 shown]
	ds_load_b128 v[208:211], v151 offset:12800
	s_waitcnt lgkmcnt(1)
	;;#ASMSTART
	
             v_fmac_f32 v130, v228, v212 
             
	;;#ASMEND
	;;#ASMSTART
	
             v_fmac_f32 v133, v228, v213 
             
	;;#ASMEND
	;; [unrolled: 5-line block ×16, first 2 shown]
	ds_load_b128 v[212:215], v160 offset:29184
	;;#ASMSTART
	
             v_fmac_f32 v50, v228, v224 
             
	;;#ASMEND
	;;#ASMSTART
	
             v_fmac_f32 v51, v228, v225 
             
	;;#ASMEND
	;; [unrolled: 5-line block ×16, first 2 shown]
	ds_load_b128 v[224:227], v160 offset:29440
	ds_load_b128 v[228:231], v151 offset:13056
	s_waitcnt lgkmcnt(2)
	;;#ASMSTART
	
             v_fmac_f32 v149, v208, v212 
             
	;;#ASMEND
	;;#ASMSTART
	
             v_fmac_f32 v150, v208, v213 
             
	;;#ASMEND
	;;#ASMSTART
	
             v_fmac_f32 v147, v208, v214 
             
	;;#ASMEND
	;;#ASMSTART
	
             v_fmac_f32 v148, v208, v215 
             
	;;#ASMEND
	;;#ASMSTART
	
             v_fmac_f32 v144, v209, v212 
             
	;;#ASMEND
	;;#ASMSTART
	
             v_fmac_f32 v135, v209, v213 
             
	;;#ASMEND
	;;#ASMSTART
	
             v_fmac_f32 v134, v209, v214 
             
	;;#ASMEND
	;;#ASMSTART
	
             v_fmac_f32 v83, v209, v215 
             
	;;#ASMEND
	;;#ASMSTART
	
             v_fmac_f32 v55, v210, v212 
             
	;;#ASMEND
	;;#ASMSTART
	
             v_fmac_f32 v54, v210, v213 
             
	;;#ASMEND
	;;#ASMSTART
	
             v_fmac_f32 v53, v210, v214 
             
	;;#ASMEND
	;;#ASMSTART
	
             v_fmac_f32 v52, v210, v215 
             
	;;#ASMEND
	;;#ASMSTART
	
             v_fmac_f32 v37, v211, v212 
             
	;;#ASMEND
	;;#ASMSTART
	
             v_fmac_f32 v36, v211, v213 
             
	;;#ASMEND
	;;#ASMSTART
	
             v_fmac_f32 v35, v211, v214 
             
	;;#ASMEND
	;;#ASMSTART
	
             v_fmac_f32 v34, v211, v215 
             
	;;#ASMEND
	s_waitcnt lgkmcnt(1)
	;;#ASMSTART
	
             v_fmac_f32 v145, v208, v224 
             
	;;#ASMEND
	;;#ASMSTART
	
             v_fmac_f32 v146, v208, v225 
             
	;;#ASMEND
	;; [unrolled: 5-line block ×16, first 2 shown]
	ds_load_b128 v[208:211], v151 offset:13312
	s_waitcnt lgkmcnt(1)
	;;#ASMSTART
	
             v_fmac_f32 v130, v228, v212 
             
	;;#ASMEND
	;;#ASMSTART
	
             v_fmac_f32 v133, v228, v213 
             
	;;#ASMEND
	;; [unrolled: 5-line block ×16, first 2 shown]
	ds_load_b128 v[212:215], v160 offset:29696
	;;#ASMSTART
	
             v_fmac_f32 v50, v228, v224 
             
	;;#ASMEND
	;;#ASMSTART
	
             v_fmac_f32 v51, v228, v225 
             
	;;#ASMEND
	;; [unrolled: 5-line block ×16, first 2 shown]
	ds_load_b128 v[224:227], v160 offset:29952
	ds_load_b128 v[228:231], v151 offset:13568
	s_waitcnt lgkmcnt(2)
	;;#ASMSTART
	
             v_fmac_f32 v149, v208, v212 
             
	;;#ASMEND
	;;#ASMSTART
	
             v_fmac_f32 v150, v208, v213 
             
	;;#ASMEND
	;; [unrolled: 5-line block ×16, first 2 shown]
	s_waitcnt lgkmcnt(1)
	;;#ASMSTART
	
             v_fmac_f32 v145, v208, v224 
             
	;;#ASMEND
	;;#ASMSTART
	
             v_fmac_f32 v146, v208, v225 
             
	;;#ASMEND
	;; [unrolled: 5-line block ×16, first 2 shown]
	ds_load_b128 v[208:211], v151 offset:13824
	s_waitcnt lgkmcnt(1)
	;;#ASMSTART
	
             v_fmac_f32 v130, v228, v212 
             
	;;#ASMEND
	;;#ASMSTART
	
             v_fmac_f32 v133, v228, v213 
             
	;;#ASMEND
	;; [unrolled: 5-line block ×16, first 2 shown]
	ds_load_b128 v[212:215], v160 offset:30208
	;;#ASMSTART
	
             v_fmac_f32 v50, v228, v224 
             
	;;#ASMEND
	;;#ASMSTART
	
             v_fmac_f32 v51, v228, v225 
             
	;;#ASMEND
	;; [unrolled: 5-line block ×16, first 2 shown]
	ds_load_b128 v[224:227], v160 offset:30464
	ds_load_b128 v[228:231], v151 offset:14080
	s_waitcnt lgkmcnt(2)
	;;#ASMSTART
	
             v_fmac_f32 v149, v208, v212 
             
	;;#ASMEND
	;;#ASMSTART
	
             v_fmac_f32 v150, v208, v213 
             
	;;#ASMEND
	;; [unrolled: 5-line block ×16, first 2 shown]
	s_waitcnt lgkmcnt(1)
	;;#ASMSTART
	
             v_fmac_f32 v145, v208, v224 
             
	;;#ASMEND
	;;#ASMSTART
	
             v_fmac_f32 v146, v208, v225 
             
	;;#ASMEND
	;; [unrolled: 5-line block ×16, first 2 shown]
	ds_load_b128 v[208:211], v151 offset:14336
	s_waitcnt lgkmcnt(1)
	;;#ASMSTART
	
             v_fmac_f32 v130, v228, v212 
             
	;;#ASMEND
	;;#ASMSTART
	
             v_fmac_f32 v133, v228, v213 
             
	;;#ASMEND
	;; [unrolled: 5-line block ×16, first 2 shown]
	ds_load_b128 v[212:215], v160 offset:30720
	;;#ASMSTART
	
             v_fmac_f32 v50, v228, v224 
             
	;;#ASMEND
	;;#ASMSTART
	
             v_fmac_f32 v51, v228, v225 
             
	;;#ASMEND
	;; [unrolled: 5-line block ×16, first 2 shown]
	ds_load_b128 v[224:227], v160 offset:30976
	ds_load_b128 v[228:231], v151 offset:14592
	s_waitcnt lgkmcnt(2)
	;;#ASMSTART
	
             v_fmac_f32 v149, v208, v212 
             
	;;#ASMEND
	;;#ASMSTART
	
             v_fmac_f32 v150, v208, v213 
             
	;;#ASMEND
	;; [unrolled: 5-line block ×16, first 2 shown]
	s_waitcnt lgkmcnt(1)
	;;#ASMSTART
	
             v_fmac_f32 v145, v208, v224 
             
	;;#ASMEND
	;;#ASMSTART
	
             v_fmac_f32 v146, v208, v225 
             
	;;#ASMEND
	;; [unrolled: 5-line block ×16, first 2 shown]
	ds_load_b128 v[208:211], v151 offset:14848
	s_waitcnt lgkmcnt(1)
	;;#ASMSTART
	
             v_fmac_f32 v130, v228, v212 
             
	;;#ASMEND
	;;#ASMSTART
	
             v_fmac_f32 v133, v228, v213 
             
	;;#ASMEND
	;; [unrolled: 5-line block ×16, first 2 shown]
	ds_load_b128 v[212:215], v160 offset:31232
	;;#ASMSTART
	
             v_fmac_f32 v50, v228, v224 
             
	;;#ASMEND
	;;#ASMSTART
	
             v_fmac_f32 v51, v228, v225 
             
	;;#ASMEND
	;;#ASMSTART
	
             v_fmac_f32 v48, v228, v226 
             
	;;#ASMEND
	;;#ASMSTART
	
             v_fmac_f32 v49, v228, v227 
             
	;;#ASMEND
	;;#ASMSTART
	
             v_fmac_f32 v98, v229, v224 
             
	;;#ASMEND
	;;#ASMSTART
	
             v_fmac_f32 v99, v229, v225 
             
	;;#ASMEND
	;;#ASMSTART
	
             v_fmac_f32 v96, v229, v226 
             
	;;#ASMEND
	;;#ASMSTART
	
             v_fmac_f32 v97, v229, v227 
             
	;;#ASMEND
	;;#ASMSTART
	
             v_fmac_f32 v114, v230, v224 
             
	;;#ASMEND
	;;#ASMSTART
	
             v_fmac_f32 v115, v230, v225 
             
	;;#ASMEND
	;;#ASMSTART
	
             v_fmac_f32 v112, v230, v226 
             
	;;#ASMEND
	;;#ASMSTART
	
             v_fmac_f32 v113, v230, v227 
             
	;;#ASMEND
	;;#ASMSTART
	
             v_fmac_f32 v128, v231, v224 
             
	;;#ASMEND
	;;#ASMSTART
	
             v_fmac_f32 v38, v231, v225 
             
	;;#ASMEND
	;;#ASMSTART
	
             v_fmac_f32 v39, v231, v226 
             
	;;#ASMEND
	;;#ASMSTART
	
             v_fmac_f32 v129, v231, v227 
             
	;;#ASMEND
	ds_load_b128 v[224:227], v160 offset:31488
	ds_load_b128 v[228:231], v151 offset:15104
	s_waitcnt lgkmcnt(2)
	;;#ASMSTART
	
             v_fmac_f32 v149, v208, v212 
             
	;;#ASMEND
	;;#ASMSTART
	
             v_fmac_f32 v150, v208, v213 
             
	;;#ASMEND
	;; [unrolled: 5-line block ×16, first 2 shown]
	s_waitcnt lgkmcnt(1)
	;;#ASMSTART
	
             v_fmac_f32 v145, v208, v224 
             
	;;#ASMEND
	;;#ASMSTART
	
             v_fmac_f32 v146, v208, v225 
             
	;;#ASMEND
	;; [unrolled: 5-line block ×16, first 2 shown]
	ds_load_b128 v[208:211], v151 offset:15360
	s_waitcnt lgkmcnt(1)
	;;#ASMSTART
	
             v_fmac_f32 v130, v228, v212 
             
	;;#ASMEND
	;;#ASMSTART
	
             v_fmac_f32 v133, v228, v213 
             
	;;#ASMEND
	;; [unrolled: 5-line block ×16, first 2 shown]
	ds_load_b128 v[212:215], v160 offset:31744
	;;#ASMSTART
	
             v_fmac_f32 v50, v228, v224 
             
	;;#ASMEND
	;;#ASMSTART
	
             v_fmac_f32 v51, v228, v225 
             
	;;#ASMEND
	;; [unrolled: 5-line block ×16, first 2 shown]
	ds_load_b128 v[224:227], v160 offset:32000
	ds_load_b128 v[228:231], v151 offset:15616
	s_waitcnt lgkmcnt(2)
	;;#ASMSTART
	
             v_fmac_f32 v149, v208, v212 
             
	;;#ASMEND
	;;#ASMSTART
	
             v_fmac_f32 v150, v208, v213 
             
	;;#ASMEND
	;;#ASMSTART
	
             v_fmac_f32 v147, v208, v214 
             
	;;#ASMEND
	;;#ASMSTART
	
             v_fmac_f32 v148, v208, v215 
             
	;;#ASMEND
	;;#ASMSTART
	
             v_fmac_f32 v144, v209, v212 
             
	;;#ASMEND
	;;#ASMSTART
	
             v_fmac_f32 v135, v209, v213 
             
	;;#ASMEND
	;;#ASMSTART
	
             v_fmac_f32 v134, v209, v214 
             
	;;#ASMEND
	;;#ASMSTART
	
             v_fmac_f32 v83, v209, v215 
             
	;;#ASMEND
	;;#ASMSTART
	
             v_fmac_f32 v55, v210, v212 
             
	;;#ASMEND
	;;#ASMSTART
	
             v_fmac_f32 v54, v210, v213 
             
	;;#ASMEND
	;;#ASMSTART
	
             v_fmac_f32 v53, v210, v214 
             
	;;#ASMEND
	;;#ASMSTART
	
             v_fmac_f32 v52, v210, v215 
             
	;;#ASMEND
	;;#ASMSTART
	
             v_fmac_f32 v37, v211, v212 
             
	;;#ASMEND
	;;#ASMSTART
	
             v_fmac_f32 v36, v211, v213 
             
	;;#ASMEND
	;;#ASMSTART
	
             v_fmac_f32 v35, v211, v214 
             
	;;#ASMEND
	;;#ASMSTART
	
             v_fmac_f32 v34, v211, v215 
             
	;;#ASMEND
	s_waitcnt lgkmcnt(1)
	;;#ASMSTART
	
             v_fmac_f32 v145, v208, v224 
             
	;;#ASMEND
	;;#ASMSTART
	
             v_fmac_f32 v146, v208, v225 
             
	;;#ASMEND
	;; [unrolled: 5-line block ×16, first 2 shown]
	ds_load_b128 v[208:211], v151 offset:15872
	s_waitcnt lgkmcnt(1)
	;;#ASMSTART
	
             v_fmac_f32 v130, v228, v212 
             
	;;#ASMEND
	;;#ASMSTART
	
             v_fmac_f32 v133, v228, v213 
             
	;;#ASMEND
	;; [unrolled: 5-line block ×16, first 2 shown]
	ds_load_b128 v[212:215], v160 offset:32256
	;;#ASMSTART
	
             v_fmac_f32 v50, v228, v224 
             
	;;#ASMEND
	;;#ASMSTART
	
             v_fmac_f32 v51, v228, v225 
             
	;;#ASMEND
	;; [unrolled: 5-line block ×8, first 2 shown]
	v_dual_cndmask_b32 v228, 0, v21 :: v_dual_cndmask_b32 v229, 0, v20
	v_cmp_ge_i32_e32 vcc_lo, s11, v167
	;;#ASMSTART
	
             v_fmac_f32 v114, v230, v224 
             
	;;#ASMEND
	;;#ASMSTART
	
             v_fmac_f32 v115, v230, v225 
             
	;;#ASMEND
	;; [unrolled: 5-line block ×4, first 2 shown]
	s_or_b32 s10, vcc_lo, s10
	;;#ASMSTART
	
             v_fmac_f32 v128, v231, v224 
             
	;;#ASMEND
	;;#ASMSTART
	
             v_fmac_f32 v38, v231, v225 
             
	;;#ASMEND
	;; [unrolled: 5-line block ×4, first 2 shown]
	ds_load_b128 v[224:227], v160 offset:32512
	ds_load_b128 v[20:23], v151 offset:16128
	s_waitcnt lgkmcnt(2)
	;;#ASMSTART
	
             v_fmac_f32 v149, v208, v212 
             
	;;#ASMEND
	;;#ASMSTART
	
             v_fmac_f32 v150, v208, v213 
             
	;;#ASMEND
	;; [unrolled: 5-line block ×16, first 2 shown]
	s_waitcnt lgkmcnt(1)
	;;#ASMSTART
	
             v_fmac_f32 v145, v208, v224 
             
	;;#ASMEND
	;;#ASMSTART
	
             v_fmac_f32 v146, v208, v225 
             
	;;#ASMEND
	;;#ASMSTART
	
             v_fmac_f32 v31, v208, v226 
             
	;;#ASMEND
	;;#ASMSTART
	
             v_fmac_f32 v33, v208, v227 
             
	;;#ASMEND
	;;#ASMSTART
	
             v_fmac_f32 v81, v209, v224 
             
	;;#ASMEND
	;;#ASMSTART
	
             v_fmac_f32 v82, v209, v225 
             
	;;#ASMEND
	;;#ASMSTART
	
             v_fmac_f32 v71, v209, v226 
             
	;;#ASMEND
	;;#ASMSTART
	
             v_fmac_f32 v80, v209, v227 
             
	;;#ASMEND
	;;#ASMSTART
	
             v_fmac_f32 v5, v210, v224 
             
	;;#ASMEND
	;;#ASMSTART
	
             v_fmac_f32 v70, v210, v225 
             
	;;#ASMEND
	;;#ASMSTART
	
             v_fmac_f32 v68, v210, v226 
             
	;;#ASMEND
	;;#ASMSTART
	
             v_fmac_f32 v69, v210, v227 
             
	;;#ASMEND
	;;#ASMSTART
	
             v_fmac_f32 v87, v211, v224 
             
	;;#ASMEND
	;;#ASMSTART
	
             v_fmac_f32 v86, v211, v225 
             
	;;#ASMEND
	;;#ASMSTART
	
             v_fmac_f32 v84, v211, v226 
             
	;;#ASMEND
	;;#ASMSTART
	
             v_fmac_f32 v85, v211, v227 
             
	;;#ASMEND
	s_waitcnt lgkmcnt(0)
	;;#ASMSTART
	
             v_fmac_f32 v130, v20, v212 
             
	;;#ASMEND
	;;#ASMSTART
	
             v_fmac_f32 v133, v20, v213 
             
	;;#ASMEND
	;; [unrolled: 5-line block ×32, first 2 shown]
	ds_store_2addr_stride64_b32 v163, v183, v182 offset1:2
	ds_store_2addr_stride64_b32 v163, v181, v180 offset0:4 offset1:6
	ds_store_2addr_stride64_b32 v163, v195, v194 offset0:8 offset1:10
	;; [unrolled: 1-line block ×6, first 2 shown]
	ds_store_b32 v163, v198 offset:16384
	ds_store_b32 v164, v240 offset:3584
	s_and_not1_b32 exec_lo, exec_lo, s10
	s_cbranch_execnz .LBB3_9
; %bb.26:
	s_or_b32 exec_lo, exec_lo, s10
	s_waitcnt lgkmcnt(0)
	s_barrier
	buffer_gl0_inv
	ds_load_b128 v[0:3], v151
	ds_load_b128 v[8:11], v160 offset:16384
	ds_load_b128 v[20:23], v160 offset:16640
	;; [unrolled: 1-line block ×3, first 2 shown]
	v_lshl_add_u32 v161, s8, 7, v32
	s_mov_b32 s8, exec_lo
	s_waitcnt lgkmcnt(2)
	;;#ASMSTART
	
             v_fmac_f32 v149, v0, v8 
             
	;;#ASMEND
	;;#ASMSTART
	
             v_fmac_f32 v150, v0, v9 
             
	;;#ASMEND
	;; [unrolled: 5-line block ×16, first 2 shown]
	s_waitcnt lgkmcnt(1)
	;;#ASMSTART
	
             v_fmac_f32 v145, v0, v20 
             
	;;#ASMEND
	;;#ASMSTART
	
             v_fmac_f32 v146, v0, v21 
             
	;;#ASMEND
	;; [unrolled: 5-line block ×16, first 2 shown]
	ds_load_b128 v[0:3], v151 offset:512
	s_waitcnt lgkmcnt(1)
	;;#ASMSTART
	
             v_fmac_f32 v130, v24, v8 
             
	;;#ASMEND
	;;#ASMSTART
	
             v_fmac_f32 v133, v24, v9 
             
	;;#ASMEND
	;; [unrolled: 5-line block ×16, first 2 shown]
	ds_load_b128 v[8:11], v160 offset:16896
	;;#ASMSTART
	
             v_fmac_f32 v50, v24, v20 
             
	;;#ASMEND
	;;#ASMSTART
	
             v_fmac_f32 v51, v24, v21 
             
	;;#ASMEND
	;; [unrolled: 5-line block ×16, first 2 shown]
	ds_load_b128 v[20:23], v160 offset:17152
	ds_load_b128 v[24:27], v151 offset:768
	s_waitcnt lgkmcnt(2)
	;;#ASMSTART
	
             v_fmac_f32 v149, v0, v8 
             
	;;#ASMEND
	;;#ASMSTART
	
             v_fmac_f32 v150, v0, v9 
             
	;;#ASMEND
	;; [unrolled: 5-line block ×16, first 2 shown]
	s_waitcnt lgkmcnt(1)
	;;#ASMSTART
	
             v_fmac_f32 v145, v0, v20 
             
	;;#ASMEND
	;;#ASMSTART
	
             v_fmac_f32 v146, v0, v21 
             
	;;#ASMEND
	;; [unrolled: 5-line block ×16, first 2 shown]
	ds_load_b128 v[0:3], v151 offset:1024
	s_waitcnt lgkmcnt(1)
	;;#ASMSTART
	
             v_fmac_f32 v130, v24, v8 
             
	;;#ASMEND
	;;#ASMSTART
	
             v_fmac_f32 v133, v24, v9 
             
	;;#ASMEND
	;; [unrolled: 5-line block ×16, first 2 shown]
	ds_load_b128 v[8:11], v160 offset:17408
	;;#ASMSTART
	
             v_fmac_f32 v50, v24, v20 
             
	;;#ASMEND
	;;#ASMSTART
	
             v_fmac_f32 v51, v24, v21 
             
	;;#ASMEND
	;; [unrolled: 5-line block ×16, first 2 shown]
	ds_load_b128 v[20:23], v160 offset:17664
	ds_load_b128 v[24:27], v151 offset:1280
	s_waitcnt lgkmcnt(2)
	;;#ASMSTART
	
             v_fmac_f32 v149, v0, v8 
             
	;;#ASMEND
	;;#ASMSTART
	
             v_fmac_f32 v150, v0, v9 
             
	;;#ASMEND
	;; [unrolled: 5-line block ×16, first 2 shown]
	s_waitcnt lgkmcnt(1)
	;;#ASMSTART
	
             v_fmac_f32 v145, v0, v20 
             
	;;#ASMEND
	;;#ASMSTART
	
             v_fmac_f32 v146, v0, v21 
             
	;;#ASMEND
	;; [unrolled: 5-line block ×16, first 2 shown]
	ds_load_b128 v[0:3], v151 offset:1536
	s_waitcnt lgkmcnt(1)
	;;#ASMSTART
	
             v_fmac_f32 v130, v24, v8 
             
	;;#ASMEND
	;;#ASMSTART
	
             v_fmac_f32 v133, v24, v9 
             
	;;#ASMEND
	;; [unrolled: 5-line block ×16, first 2 shown]
	ds_load_b128 v[8:11], v160 offset:17920
	;;#ASMSTART
	
             v_fmac_f32 v50, v24, v20 
             
	;;#ASMEND
	;;#ASMSTART
	
             v_fmac_f32 v51, v24, v21 
             
	;;#ASMEND
	;; [unrolled: 5-line block ×16, first 2 shown]
	ds_load_b128 v[20:23], v160 offset:18176
	ds_load_b128 v[24:27], v151 offset:1792
	s_waitcnt lgkmcnt(2)
	;;#ASMSTART
	
             v_fmac_f32 v149, v0, v8 
             
	;;#ASMEND
	;;#ASMSTART
	
             v_fmac_f32 v150, v0, v9 
             
	;;#ASMEND
	;; [unrolled: 5-line block ×16, first 2 shown]
	s_waitcnt lgkmcnt(1)
	;;#ASMSTART
	
             v_fmac_f32 v145, v0, v20 
             
	;;#ASMEND
	;;#ASMSTART
	
             v_fmac_f32 v146, v0, v21 
             
	;;#ASMEND
	;; [unrolled: 5-line block ×16, first 2 shown]
	ds_load_b128 v[0:3], v151 offset:2048
	s_waitcnt lgkmcnt(1)
	;;#ASMSTART
	
             v_fmac_f32 v130, v24, v8 
             
	;;#ASMEND
	;;#ASMSTART
	
             v_fmac_f32 v133, v24, v9 
             
	;;#ASMEND
	;; [unrolled: 5-line block ×16, first 2 shown]
	ds_load_b128 v[8:11], v160 offset:18432
	;;#ASMSTART
	
             v_fmac_f32 v50, v24, v20 
             
	;;#ASMEND
	;;#ASMSTART
	
             v_fmac_f32 v51, v24, v21 
             
	;;#ASMEND
	;; [unrolled: 5-line block ×16, first 2 shown]
	ds_load_b128 v[20:23], v160 offset:18688
	ds_load_b128 v[24:27], v151 offset:2304
	s_waitcnt lgkmcnt(2)
	;;#ASMSTART
	
             v_fmac_f32 v149, v0, v8 
             
	;;#ASMEND
	;;#ASMSTART
	
             v_fmac_f32 v150, v0, v9 
             
	;;#ASMEND
	;; [unrolled: 5-line block ×16, first 2 shown]
	s_waitcnt lgkmcnt(1)
	;;#ASMSTART
	
             v_fmac_f32 v145, v0, v20 
             
	;;#ASMEND
	;;#ASMSTART
	
             v_fmac_f32 v146, v0, v21 
             
	;;#ASMEND
	;; [unrolled: 5-line block ×16, first 2 shown]
	ds_load_b128 v[0:3], v151 offset:2560
	s_waitcnt lgkmcnt(1)
	;;#ASMSTART
	
             v_fmac_f32 v130, v24, v8 
             
	;;#ASMEND
	;;#ASMSTART
	
             v_fmac_f32 v133, v24, v9 
             
	;;#ASMEND
	;; [unrolled: 5-line block ×16, first 2 shown]
	ds_load_b128 v[8:11], v160 offset:18944
	;;#ASMSTART
	
             v_fmac_f32 v50, v24, v20 
             
	;;#ASMEND
	;;#ASMSTART
	
             v_fmac_f32 v51, v24, v21 
             
	;;#ASMEND
	;; [unrolled: 5-line block ×16, first 2 shown]
	ds_load_b128 v[20:23], v160 offset:19200
	ds_load_b128 v[24:27], v151 offset:2816
	s_waitcnt lgkmcnt(2)
	;;#ASMSTART
	
             v_fmac_f32 v149, v0, v8 
             
	;;#ASMEND
	;;#ASMSTART
	
             v_fmac_f32 v150, v0, v9 
             
	;;#ASMEND
	;; [unrolled: 5-line block ×16, first 2 shown]
	s_waitcnt lgkmcnt(1)
	;;#ASMSTART
	
             v_fmac_f32 v145, v0, v20 
             
	;;#ASMEND
	;;#ASMSTART
	
             v_fmac_f32 v146, v0, v21 
             
	;;#ASMEND
	;; [unrolled: 5-line block ×16, first 2 shown]
	ds_load_b128 v[0:3], v151 offset:3072
	s_waitcnt lgkmcnt(1)
	;;#ASMSTART
	
             v_fmac_f32 v130, v24, v8 
             
	;;#ASMEND
	;;#ASMSTART
	
             v_fmac_f32 v133, v24, v9 
             
	;;#ASMEND
	;; [unrolled: 5-line block ×16, first 2 shown]
	ds_load_b128 v[8:11], v160 offset:19456
	;;#ASMSTART
	
             v_fmac_f32 v50, v24, v20 
             
	;;#ASMEND
	;;#ASMSTART
	
             v_fmac_f32 v51, v24, v21 
             
	;;#ASMEND
	;; [unrolled: 5-line block ×16, first 2 shown]
	ds_load_b128 v[20:23], v160 offset:19712
	ds_load_b128 v[24:27], v151 offset:3328
	s_waitcnt lgkmcnt(2)
	;;#ASMSTART
	
             v_fmac_f32 v149, v0, v8 
             
	;;#ASMEND
	;;#ASMSTART
	
             v_fmac_f32 v150, v0, v9 
             
	;;#ASMEND
	;; [unrolled: 5-line block ×16, first 2 shown]
	s_waitcnt lgkmcnt(1)
	;;#ASMSTART
	
             v_fmac_f32 v145, v0, v20 
             
	;;#ASMEND
	;;#ASMSTART
	
             v_fmac_f32 v146, v0, v21 
             
	;;#ASMEND
	;; [unrolled: 5-line block ×16, first 2 shown]
	ds_load_b128 v[0:3], v151 offset:3584
	s_waitcnt lgkmcnt(1)
	;;#ASMSTART
	
             v_fmac_f32 v130, v24, v8 
             
	;;#ASMEND
	;;#ASMSTART
	
             v_fmac_f32 v133, v24, v9 
             
	;;#ASMEND
	;; [unrolled: 5-line block ×16, first 2 shown]
	ds_load_b128 v[8:11], v160 offset:19968
	;;#ASMSTART
	
             v_fmac_f32 v50, v24, v20 
             
	;;#ASMEND
	;;#ASMSTART
	
             v_fmac_f32 v51, v24, v21 
             
	;;#ASMEND
	;; [unrolled: 5-line block ×16, first 2 shown]
	ds_load_b128 v[20:23], v160 offset:20224
	ds_load_b128 v[24:27], v151 offset:3840
	s_waitcnt lgkmcnt(2)
	;;#ASMSTART
	
             v_fmac_f32 v149, v0, v8 
             
	;;#ASMEND
	;;#ASMSTART
	
             v_fmac_f32 v150, v0, v9 
             
	;;#ASMEND
	;; [unrolled: 5-line block ×16, first 2 shown]
	s_waitcnt lgkmcnt(1)
	;;#ASMSTART
	
             v_fmac_f32 v145, v0, v20 
             
	;;#ASMEND
	;;#ASMSTART
	
             v_fmac_f32 v146, v0, v21 
             
	;;#ASMEND
	;;#ASMSTART
	
             v_fmac_f32 v31, v0, v22 
             
	;;#ASMEND
	;;#ASMSTART
	
             v_fmac_f32 v33, v0, v23 
             
	;;#ASMEND
	;;#ASMSTART
	
             v_fmac_f32 v81, v1, v20 
             
	;;#ASMEND
	;;#ASMSTART
	
             v_fmac_f32 v82, v1, v21 
             
	;;#ASMEND
	;;#ASMSTART
	
             v_fmac_f32 v71, v1, v22 
             
	;;#ASMEND
	;;#ASMSTART
	
             v_fmac_f32 v80, v1, v23 
             
	;;#ASMEND
	;;#ASMSTART
	
             v_fmac_f32 v5, v2, v20 
             
	;;#ASMEND
	;;#ASMSTART
	
             v_fmac_f32 v70, v2, v21 
             
	;;#ASMEND
	;;#ASMSTART
	
             v_fmac_f32 v68, v2, v22 
             
	;;#ASMEND
	;;#ASMSTART
	
             v_fmac_f32 v69, v2, v23 
             
	;;#ASMEND
	;;#ASMSTART
	
             v_fmac_f32 v87, v3, v20 
             
	;;#ASMEND
	;;#ASMSTART
	
             v_fmac_f32 v86, v3, v21 
             
	;;#ASMEND
	;;#ASMSTART
	
             v_fmac_f32 v84, v3, v22 
             
	;;#ASMEND
	;;#ASMSTART
	
             v_fmac_f32 v85, v3, v23 
             
	;;#ASMEND
	ds_load_b128 v[0:3], v151 offset:4096
	s_waitcnt lgkmcnt(1)
	;;#ASMSTART
	
             v_fmac_f32 v130, v24, v8 
             
	;;#ASMEND
	;;#ASMSTART
	
             v_fmac_f32 v133, v24, v9 
             
	;;#ASMEND
	;; [unrolled: 5-line block ×16, first 2 shown]
	ds_load_b128 v[8:11], v160 offset:20480
	;;#ASMSTART
	
             v_fmac_f32 v50, v24, v20 
             
	;;#ASMEND
	;;#ASMSTART
	
             v_fmac_f32 v51, v24, v21 
             
	;;#ASMEND
	;; [unrolled: 5-line block ×16, first 2 shown]
	ds_load_b128 v[20:23], v160 offset:20736
	ds_load_b128 v[24:27], v151 offset:4352
	s_waitcnt lgkmcnt(2)
	;;#ASMSTART
	
             v_fmac_f32 v149, v0, v8 
             
	;;#ASMEND
	;;#ASMSTART
	
             v_fmac_f32 v150, v0, v9 
             
	;;#ASMEND
	;; [unrolled: 5-line block ×16, first 2 shown]
	s_waitcnt lgkmcnt(1)
	;;#ASMSTART
	
             v_fmac_f32 v145, v0, v20 
             
	;;#ASMEND
	;;#ASMSTART
	
             v_fmac_f32 v146, v0, v21 
             
	;;#ASMEND
	;;#ASMSTART
	
             v_fmac_f32 v31, v0, v22 
             
	;;#ASMEND
	;;#ASMSTART
	
             v_fmac_f32 v33, v0, v23 
             
	;;#ASMEND
	;;#ASMSTART
	
             v_fmac_f32 v81, v1, v20 
             
	;;#ASMEND
	;;#ASMSTART
	
             v_fmac_f32 v82, v1, v21 
             
	;;#ASMEND
	;;#ASMSTART
	
             v_fmac_f32 v71, v1, v22 
             
	;;#ASMEND
	;;#ASMSTART
	
             v_fmac_f32 v80, v1, v23 
             
	;;#ASMEND
	;;#ASMSTART
	
             v_fmac_f32 v5, v2, v20 
             
	;;#ASMEND
	;;#ASMSTART
	
             v_fmac_f32 v70, v2, v21 
             
	;;#ASMEND
	;;#ASMSTART
	
             v_fmac_f32 v68, v2, v22 
             
	;;#ASMEND
	;;#ASMSTART
	
             v_fmac_f32 v69, v2, v23 
             
	;;#ASMEND
	;;#ASMSTART
	
             v_fmac_f32 v87, v3, v20 
             
	;;#ASMEND
	;;#ASMSTART
	
             v_fmac_f32 v86, v3, v21 
             
	;;#ASMEND
	;;#ASMSTART
	
             v_fmac_f32 v84, v3, v22 
             
	;;#ASMEND
	;;#ASMSTART
	
             v_fmac_f32 v85, v3, v23 
             
	;;#ASMEND
	ds_load_b128 v[0:3], v151 offset:4608
	s_waitcnt lgkmcnt(1)
	;;#ASMSTART
	
             v_fmac_f32 v130, v24, v8 
             
	;;#ASMEND
	;;#ASMSTART
	
             v_fmac_f32 v133, v24, v9 
             
	;;#ASMEND
	;;#ASMSTART
	
             v_fmac_f32 v132, v24, v10 
             
	;;#ASMEND
	;;#ASMSTART
	
             v_fmac_f32 v131, v24, v11 
             
	;;#ASMEND
	;;#ASMSTART
	
             v_fmac_f32 v67, v25, v8 
             
	;;#ASMEND
	;;#ASMSTART
	
             v_fmac_f32 v66, v25, v9 
             
	;;#ASMEND
	;;#ASMSTART
	
             v_fmac_f32 v65, v25, v10 
             
	;;#ASMEND
	;;#ASMSTART
	
             v_fmac_f32 v64, v25, v11 
             
	;;#ASMEND
	;;#ASMSTART
	
             v_fmac_f32 v103, v26, v8 
             
	;;#ASMEND
	;;#ASMSTART
	
             v_fmac_f32 v102, v26, v9 
             
	;;#ASMEND
	;;#ASMSTART
	
             v_fmac_f32 v101, v26, v10 
             
	;;#ASMEND
	;;#ASMSTART
	
             v_fmac_f32 v100, v26, v11 
             
	;;#ASMEND
	;;#ASMSTART
	
             v_fmac_f32 v119, v27, v8 
             
	;;#ASMEND
	;;#ASMSTART
	
             v_fmac_f32 v118, v27, v9 
             
	;;#ASMEND
	;;#ASMSTART
	
             v_fmac_f32 v116, v27, v10 
             
	;;#ASMEND
	;;#ASMSTART
	
             v_fmac_f32 v117, v27, v11 
             
	;;#ASMEND
	ds_load_b128 v[8:11], v160 offset:20992
	;;#ASMSTART
	
             v_fmac_f32 v50, v24, v20 
             
	;;#ASMEND
	;;#ASMSTART
	
             v_fmac_f32 v51, v24, v21 
             
	;;#ASMEND
	;; [unrolled: 5-line block ×16, first 2 shown]
	ds_load_b128 v[20:23], v160 offset:21248
	ds_load_b128 v[24:27], v151 offset:4864
	s_waitcnt lgkmcnt(2)
	;;#ASMSTART
	
             v_fmac_f32 v149, v0, v8 
             
	;;#ASMEND
	;;#ASMSTART
	
             v_fmac_f32 v150, v0, v9 
             
	;;#ASMEND
	;; [unrolled: 5-line block ×16, first 2 shown]
	s_waitcnt lgkmcnt(1)
	;;#ASMSTART
	
             v_fmac_f32 v145, v0, v20 
             
	;;#ASMEND
	;;#ASMSTART
	
             v_fmac_f32 v146, v0, v21 
             
	;;#ASMEND
	;; [unrolled: 5-line block ×16, first 2 shown]
	ds_load_b128 v[0:3], v151 offset:5120
	s_waitcnt lgkmcnt(1)
	;;#ASMSTART
	
             v_fmac_f32 v130, v24, v8 
             
	;;#ASMEND
	;;#ASMSTART
	
             v_fmac_f32 v133, v24, v9 
             
	;;#ASMEND
	;; [unrolled: 5-line block ×16, first 2 shown]
	ds_load_b128 v[8:11], v160 offset:21504
	;;#ASMSTART
	
             v_fmac_f32 v50, v24, v20 
             
	;;#ASMEND
	;;#ASMSTART
	
             v_fmac_f32 v51, v24, v21 
             
	;;#ASMEND
	;; [unrolled: 5-line block ×16, first 2 shown]
	ds_load_b128 v[20:23], v160 offset:21760
	ds_load_b128 v[24:27], v151 offset:5376
	s_waitcnt lgkmcnt(2)
	;;#ASMSTART
	
             v_fmac_f32 v149, v0, v8 
             
	;;#ASMEND
	;;#ASMSTART
	
             v_fmac_f32 v150, v0, v9 
             
	;;#ASMEND
	;; [unrolled: 5-line block ×16, first 2 shown]
	s_waitcnt lgkmcnt(1)
	;;#ASMSTART
	
             v_fmac_f32 v145, v0, v20 
             
	;;#ASMEND
	;;#ASMSTART
	
             v_fmac_f32 v146, v0, v21 
             
	;;#ASMEND
	;; [unrolled: 5-line block ×16, first 2 shown]
	ds_load_b128 v[0:3], v151 offset:5632
	s_waitcnt lgkmcnt(1)
	;;#ASMSTART
	
             v_fmac_f32 v130, v24, v8 
             
	;;#ASMEND
	;;#ASMSTART
	
             v_fmac_f32 v133, v24, v9 
             
	;;#ASMEND
	;; [unrolled: 5-line block ×16, first 2 shown]
	ds_load_b128 v[8:11], v160 offset:22016
	;;#ASMSTART
	
             v_fmac_f32 v50, v24, v20 
             
	;;#ASMEND
	;;#ASMSTART
	
             v_fmac_f32 v51, v24, v21 
             
	;;#ASMEND
	;; [unrolled: 5-line block ×16, first 2 shown]
	ds_load_b128 v[20:23], v160 offset:22272
	ds_load_b128 v[24:27], v151 offset:5888
	s_waitcnt lgkmcnt(2)
	;;#ASMSTART
	
             v_fmac_f32 v149, v0, v8 
             
	;;#ASMEND
	;;#ASMSTART
	
             v_fmac_f32 v150, v0, v9 
             
	;;#ASMEND
	;; [unrolled: 5-line block ×16, first 2 shown]
	s_waitcnt lgkmcnt(1)
	;;#ASMSTART
	
             v_fmac_f32 v145, v0, v20 
             
	;;#ASMEND
	;;#ASMSTART
	
             v_fmac_f32 v146, v0, v21 
             
	;;#ASMEND
	;; [unrolled: 5-line block ×16, first 2 shown]
	ds_load_b128 v[0:3], v151 offset:6144
	s_waitcnt lgkmcnt(1)
	;;#ASMSTART
	
             v_fmac_f32 v130, v24, v8 
             
	;;#ASMEND
	;;#ASMSTART
	
             v_fmac_f32 v133, v24, v9 
             
	;;#ASMEND
	;; [unrolled: 5-line block ×16, first 2 shown]
	ds_load_b128 v[8:11], v160 offset:22528
	;;#ASMSTART
	
             v_fmac_f32 v50, v24, v20 
             
	;;#ASMEND
	;;#ASMSTART
	
             v_fmac_f32 v51, v24, v21 
             
	;;#ASMEND
	;; [unrolled: 5-line block ×16, first 2 shown]
	ds_load_b128 v[20:23], v160 offset:22784
	ds_load_b128 v[24:27], v151 offset:6400
	s_waitcnt lgkmcnt(2)
	;;#ASMSTART
	
             v_fmac_f32 v149, v0, v8 
             
	;;#ASMEND
	;;#ASMSTART
	
             v_fmac_f32 v150, v0, v9 
             
	;;#ASMEND
	;; [unrolled: 5-line block ×16, first 2 shown]
	s_waitcnt lgkmcnt(1)
	;;#ASMSTART
	
             v_fmac_f32 v145, v0, v20 
             
	;;#ASMEND
	;;#ASMSTART
	
             v_fmac_f32 v146, v0, v21 
             
	;;#ASMEND
	;; [unrolled: 5-line block ×16, first 2 shown]
	ds_load_b128 v[0:3], v151 offset:6656
	s_waitcnt lgkmcnt(1)
	;;#ASMSTART
	
             v_fmac_f32 v130, v24, v8 
             
	;;#ASMEND
	;;#ASMSTART
	
             v_fmac_f32 v133, v24, v9 
             
	;;#ASMEND
	;; [unrolled: 5-line block ×16, first 2 shown]
	ds_load_b128 v[8:11], v160 offset:23040
	;;#ASMSTART
	
             v_fmac_f32 v50, v24, v20 
             
	;;#ASMEND
	;;#ASMSTART
	
             v_fmac_f32 v51, v24, v21 
             
	;;#ASMEND
	;; [unrolled: 5-line block ×16, first 2 shown]
	ds_load_b128 v[20:23], v160 offset:23296
	ds_load_b128 v[24:27], v151 offset:6912
	s_waitcnt lgkmcnt(2)
	;;#ASMSTART
	
             v_fmac_f32 v149, v0, v8 
             
	;;#ASMEND
	;;#ASMSTART
	
             v_fmac_f32 v150, v0, v9 
             
	;;#ASMEND
	;; [unrolled: 5-line block ×16, first 2 shown]
	s_waitcnt lgkmcnt(1)
	;;#ASMSTART
	
             v_fmac_f32 v145, v0, v20 
             
	;;#ASMEND
	;;#ASMSTART
	
             v_fmac_f32 v146, v0, v21 
             
	;;#ASMEND
	;; [unrolled: 5-line block ×16, first 2 shown]
	ds_load_b128 v[0:3], v151 offset:7168
	s_waitcnt lgkmcnt(1)
	;;#ASMSTART
	
             v_fmac_f32 v130, v24, v8 
             
	;;#ASMEND
	;;#ASMSTART
	
             v_fmac_f32 v133, v24, v9 
             
	;;#ASMEND
	;; [unrolled: 5-line block ×16, first 2 shown]
	ds_load_b128 v[8:11], v160 offset:23552
	;;#ASMSTART
	
             v_fmac_f32 v50, v24, v20 
             
	;;#ASMEND
	;;#ASMSTART
	
             v_fmac_f32 v51, v24, v21 
             
	;;#ASMEND
	;; [unrolled: 5-line block ×16, first 2 shown]
	ds_load_b128 v[20:23], v160 offset:23808
	ds_load_b128 v[24:27], v151 offset:7424
	s_waitcnt lgkmcnt(2)
	;;#ASMSTART
	
             v_fmac_f32 v149, v0, v8 
             
	;;#ASMEND
	;;#ASMSTART
	
             v_fmac_f32 v150, v0, v9 
             
	;;#ASMEND
	;; [unrolled: 5-line block ×16, first 2 shown]
	s_waitcnt lgkmcnt(1)
	;;#ASMSTART
	
             v_fmac_f32 v145, v0, v20 
             
	;;#ASMEND
	;;#ASMSTART
	
             v_fmac_f32 v146, v0, v21 
             
	;;#ASMEND
	;; [unrolled: 5-line block ×16, first 2 shown]
	ds_load_b128 v[0:3], v151 offset:7680
	s_waitcnt lgkmcnt(1)
	;;#ASMSTART
	
             v_fmac_f32 v130, v24, v8 
             
	;;#ASMEND
	;;#ASMSTART
	
             v_fmac_f32 v133, v24, v9 
             
	;;#ASMEND
	;; [unrolled: 5-line block ×16, first 2 shown]
	ds_load_b128 v[8:11], v160 offset:24064
	;;#ASMSTART
	
             v_fmac_f32 v50, v24, v20 
             
	;;#ASMEND
	;;#ASMSTART
	
             v_fmac_f32 v51, v24, v21 
             
	;;#ASMEND
	;;#ASMSTART
	
             v_fmac_f32 v48, v24, v22 
             
	;;#ASMEND
	;;#ASMSTART
	
             v_fmac_f32 v49, v24, v23 
             
	;;#ASMEND
	;;#ASMSTART
	
             v_fmac_f32 v98, v25, v20 
             
	;;#ASMEND
	;;#ASMSTART
	
             v_fmac_f32 v99, v25, v21 
             
	;;#ASMEND
	;;#ASMSTART
	
             v_fmac_f32 v96, v25, v22 
             
	;;#ASMEND
	;;#ASMSTART
	
             v_fmac_f32 v97, v25, v23 
             
	;;#ASMEND
	;;#ASMSTART
	
             v_fmac_f32 v114, v26, v20 
             
	;;#ASMEND
	;;#ASMSTART
	
             v_fmac_f32 v115, v26, v21 
             
	;;#ASMEND
	;;#ASMSTART
	
             v_fmac_f32 v112, v26, v22 
             
	;;#ASMEND
	;;#ASMSTART
	
             v_fmac_f32 v113, v26, v23 
             
	;;#ASMEND
	;;#ASMSTART
	
             v_fmac_f32 v128, v27, v20 
             
	;;#ASMEND
	;;#ASMSTART
	
             v_fmac_f32 v38, v27, v21 
             
	;;#ASMEND
	;;#ASMSTART
	
             v_fmac_f32 v39, v27, v22 
             
	;;#ASMEND
	;;#ASMSTART
	
             v_fmac_f32 v129, v27, v23 
             
	;;#ASMEND
	ds_load_b128 v[20:23], v160 offset:24320
	ds_load_b128 v[24:27], v151 offset:7936
	s_waitcnt lgkmcnt(2)
	;;#ASMSTART
	
             v_fmac_f32 v149, v0, v8 
             
	;;#ASMEND
	;;#ASMSTART
	
             v_fmac_f32 v150, v0, v9 
             
	;;#ASMEND
	;; [unrolled: 5-line block ×16, first 2 shown]
	s_waitcnt lgkmcnt(1)
	;;#ASMSTART
	
             v_fmac_f32 v145, v0, v20 
             
	;;#ASMEND
	;;#ASMSTART
	
             v_fmac_f32 v146, v0, v21 
             
	;;#ASMEND
	;; [unrolled: 5-line block ×16, first 2 shown]
	s_waitcnt lgkmcnt(0)
	;;#ASMSTART
	
             v_fmac_f32 v130, v24, v8 
             
	;;#ASMEND
	;;#ASMSTART
	
             v_fmac_f32 v133, v24, v9 
             
	;;#ASMEND
	;; [unrolled: 5-line block ×32, first 2 shown]
	s_clause 0x3
	flat_load_b64 v[16:17], v[12:13] offset:8
	flat_load_b32 v10, v[12:13] offset:32
	flat_load_b32 v162, v[12:13] offset:20
	;; [unrolled: 1-line block ×3, first 2 shown]
	v_lshl_add_u32 v151, s9, 7, v30
	v_mov_b32_e32 v21, 0x31004000
	s_waitcnt vmcnt(3) lgkmcnt(3)
	v_mul_lo_u32 v0, v16, v161
	s_waitcnt vmcnt(2) lgkmcnt(2)
	v_cmp_gt_i32_e32 vcc_lo, v10, v151
	s_waitcnt vmcnt(1) lgkmcnt(1)
	v_cmp_gt_i32_e64 s1, v162, v161
	s_waitcnt vmcnt(0) lgkmcnt(0)
	v_lshlrev_b32_e32 v20, 2, v1
	s_delay_alu instid0(VALU_DEP_2) | instskip(SKIP_1) | instid1(VALU_DEP_1)
	s_and_b32 s0, s1, vcc_lo
	v_mad_u64_u32 v[8:9], null, v17, v151, v[0:1]
	v_lshlrev_b32_e32 v9, 2, v8
.LBB3_27:                               ; =>This Inner Loop Header: Depth=1
	v_readfirstlane_b32 s4, v18
	v_readfirstlane_b32 s5, v19
	;; [unrolled: 1-line block ×4, first 2 shown]
	s_delay_alu instid0(VALU_DEP_3) | instskip(NEXT) | instid1(VALU_DEP_2)
	v_cmp_eq_u64_e64 s2, s[4:5], v[18:19]
	v_cmp_eq_u64_e64 s3, s[6:7], v[20:21]
	s_delay_alu instid0(VALU_DEP_1) | instskip(NEXT) | instid1(SALU_CYCLE_1)
	s_and_b32 s2, s2, s3
	s_and_saveexec_b32 s2, s2
	buffer_load_b128 v[0:3], v9, s[4:7], 0 offen
                                        ; implicit-def: $vgpr9
	s_xor_b32 exec_lo, exec_lo, s2
	s_cbranch_execnz .LBB3_27
; %bb.28:
	s_mov_b32 exec_lo, s8
	s_waitcnt vmcnt(0)
	v_cndmask_b32_e64 v0, 0, v0, s0
	v_cndmask_b32_e64 v1, 0, v1, s0
	;; [unrolled: 1-line block ×4, first 2 shown]
	v_add_nc_u32_e32 v160, 64, v151
	v_dual_add_f32 v0, v149, v0 :: v_dual_lshlrev_b32 v17, 6, v17
	s_delay_alu instid0(VALU_DEP_3) | instskip(SKIP_1) | instid1(VALU_DEP_4)
	v_dual_add_f32 v1, v150, v1 :: v_dual_add_f32 v2, v147, v2
	v_add_f32_e32 v3, v148, v3
	v_cmp_gt_i32_e64 s0, v10, v160
	s_delay_alu instid0(VALU_DEP_3) | instskip(NEXT) | instid1(VALU_DEP_3)
	v_dual_max_f32 v26, 0, v0 :: v_dual_max_f32 v27, 0, v1
	v_dual_max_f32 v28, 0, v2 :: v_dual_max_f32 v29, 0, v3
	v_add_lshl_u32 v9, v8, v17, 2
	s_delay_alu instid0(VALU_DEP_4)
	s_and_b32 s1, s1, s0
	s_mov_b32 s8, exec_lo
.LBB3_29:                               ; =>This Inner Loop Header: Depth=1
	v_readfirstlane_b32 s4, v18
	v_readfirstlane_b32 s5, v19
	;; [unrolled: 1-line block ×4, first 2 shown]
	s_delay_alu instid0(VALU_DEP_3) | instskip(NEXT) | instid1(VALU_DEP_2)
	v_cmp_eq_u64_e64 s2, s[4:5], v[18:19]
	v_cmp_eq_u64_e64 s3, s[6:7], v[20:21]
	s_delay_alu instid0(VALU_DEP_1) | instskip(NEXT) | instid1(SALU_CYCLE_1)
	s_and_b32 s2, s2, s3
	s_and_saveexec_b32 s2, s2
	buffer_load_b128 v[0:3], v9, s[4:7], 0 offen
                                        ; implicit-def: $vgpr9
	s_xor_b32 exec_lo, exec_lo, s2
	s_cbranch_execnz .LBB3_29
; %bb.30:
	s_mov_b32 exec_lo, s8
	s_waitcnt vmcnt(0)
	v_cndmask_b32_e64 v0, 0, v0, s1
	v_cndmask_b32_e64 v1, 0, v1, s1
	;; [unrolled: 1-line block ×4, first 2 shown]
	v_or_b32_e32 v147, 1, v161
	s_delay_alu instid0(VALU_DEP_4) | instskip(NEXT) | instid1(VALU_DEP_4)
	v_dual_add_f32 v0, v145, v0 :: v_dual_add_f32 v1, v146, v1
	v_dual_add_f32 v3, v33, v3 :: v_dual_add_nc_u32 v8, v8, v16
	s_delay_alu instid0(VALU_DEP_4) | instskip(NEXT) | instid1(VALU_DEP_4)
	v_add_f32_e32 v2, v31, v2
	v_cmp_gt_i32_e64 s1, v162, v147
	s_delay_alu instid0(VALU_DEP_4) | instskip(NEXT) | instid1(VALU_DEP_3)
	v_dual_max_f32 v31, 0, v1 :: v_dual_max_f32 v30, 0, v0
	v_dual_max_f32 v33, 0, v3 :: v_dual_max_f32 v32, 0, v2
	v_lshlrev_b32_e32 v9, 2, v8
	s_delay_alu instid0(VALU_DEP_4)
	s_and_b32 s2, s1, vcc_lo
	s_mov_b32 s5, exec_lo
.LBB3_31:                               ; =>This Inner Loop Header: Depth=1
	v_readfirstlane_b32 s8, v18
	v_readfirstlane_b32 s9, v19
	v_readfirstlane_b32 s10, v20
	v_readfirstlane_b32 s11, v21
	s_delay_alu instid0(VALU_DEP_3) | instskip(NEXT) | instid1(VALU_DEP_2)
	v_cmp_eq_u64_e64 s3, s[8:9], v[18:19]
	v_cmp_eq_u64_e64 s4, s[10:11], v[20:21]
	s_delay_alu instid0(VALU_DEP_1) | instskip(NEXT) | instid1(SALU_CYCLE_1)
	s_and_b32 s3, s3, s4
	s_and_saveexec_b32 s3, s3
	buffer_load_b128 v[0:3], v9, s[8:11], 0 offen
                                        ; implicit-def: $vgpr9
	s_xor_b32 exec_lo, exec_lo, s3
	s_cbranch_execnz .LBB3_31
; %bb.32:
	s_mov_b32 exec_lo, s5
	s_waitcnt vmcnt(0)
	v_cndmask_b32_e64 v0, 0, v0, s2
	v_cndmask_b32_e64 v1, 0, v1, s2
	;; [unrolled: 1-line block ×4, first 2 shown]
	v_add_lshl_u32 v9, v8, v17, 2
	s_delay_alu instid0(VALU_DEP_4) | instskip(NEXT) | instid1(VALU_DEP_3)
	v_dual_add_f32 v0, v144, v0 :: v_dual_add_f32 v1, v135, v1
	v_dual_add_f32 v2, v134, v2 :: v_dual_add_f32 v3, v83, v3
	s_and_b32 s1, s1, s0
	s_delay_alu instid0(VALU_DEP_2) | instskip(NEXT) | instid1(VALU_DEP_2)
	v_dual_max_f32 v22, 0, v0 :: v_dual_max_f32 v23, 0, v1
	v_dual_max_f32 v24, 0, v2 :: v_dual_max_f32 v25, 0, v3
	s_mov_b32 s8, exec_lo
.LBB3_33:                               ; =>This Inner Loop Header: Depth=1
	v_readfirstlane_b32 s4, v18
	v_readfirstlane_b32 s5, v19
	;; [unrolled: 1-line block ×4, first 2 shown]
	s_delay_alu instid0(VALU_DEP_3) | instskip(NEXT) | instid1(VALU_DEP_2)
	v_cmp_eq_u64_e64 s2, s[4:5], v[18:19]
	v_cmp_eq_u64_e64 s3, s[6:7], v[20:21]
	s_delay_alu instid0(VALU_DEP_1) | instskip(NEXT) | instid1(SALU_CYCLE_1)
	s_and_b32 s2, s2, s3
	s_and_saveexec_b32 s2, s2
	buffer_load_b128 v[0:3], v9, s[4:7], 0 offen
                                        ; implicit-def: $vgpr9
	s_xor_b32 exec_lo, exec_lo, s2
	s_cbranch_execnz .LBB3_33
; %bb.34:
	s_mov_b32 exec_lo, s8
	s_waitcnt vmcnt(0)
	v_cndmask_b32_e64 v0, 0, v0, s1
	v_cndmask_b32_e64 v1, 0, v1, s1
	;; [unrolled: 1-line block ×4, first 2 shown]
	v_or_b32_e32 v135, 2, v161
	s_delay_alu instid0(VALU_DEP_4) | instskip(SKIP_1) | instid1(VALU_DEP_4)
	v_dual_add_f32 v0, v81, v0 :: v_dual_add_f32 v1, v82, v1
	v_add_nc_u32_e32 v8, v8, v16
	v_dual_add_f32 v2, v71, v2 :: v_dual_add_f32 v3, v80, v3
	s_delay_alu instid0(VALU_DEP_4) | instskip(NEXT) | instid1(VALU_DEP_4)
	v_cmp_gt_i32_e64 s1, v162, v135
	v_dual_max_f32 v80, 0, v0 :: v_dual_max_f32 v81, 0, v1
	s_delay_alu instid0(VALU_DEP_3) | instskip(NEXT) | instid1(VALU_DEP_4)
	v_dual_max_f32 v82, 0, v2 :: v_dual_lshlrev_b32 v9, 2, v8
	v_max_f32_e32 v83, 0, v3
	s_delay_alu instid0(VALU_DEP_4)
	s_and_b32 s2, s1, vcc_lo
	s_mov_b32 s5, exec_lo
.LBB3_35:                               ; =>This Inner Loop Header: Depth=1
	v_readfirstlane_b32 s8, v18
	v_readfirstlane_b32 s9, v19
	;; [unrolled: 1-line block ×4, first 2 shown]
	s_delay_alu instid0(VALU_DEP_3) | instskip(NEXT) | instid1(VALU_DEP_2)
	v_cmp_eq_u64_e64 s3, s[8:9], v[18:19]
	v_cmp_eq_u64_e64 s4, s[10:11], v[20:21]
	s_delay_alu instid0(VALU_DEP_1) | instskip(NEXT) | instid1(SALU_CYCLE_1)
	s_and_b32 s3, s3, s4
	s_and_saveexec_b32 s3, s3
	buffer_load_b128 v[0:3], v9, s[8:11], 0 offen
                                        ; implicit-def: $vgpr9
	s_xor_b32 exec_lo, exec_lo, s3
	s_cbranch_execnz .LBB3_35
; %bb.36:
	s_mov_b32 exec_lo, s5
	s_waitcnt vmcnt(0)
	v_cndmask_b32_e64 v0, 0, v0, s2
	v_cndmask_b32_e64 v1, 0, v1, s2
	;; [unrolled: 1-line block ×4, first 2 shown]
	v_add_lshl_u32 v9, v8, v17, 2
	s_delay_alu instid0(VALU_DEP_4) | instskip(NEXT) | instid1(VALU_DEP_3)
	v_dual_add_f32 v0, v55, v0 :: v_dual_add_f32 v1, v54, v1
	v_dual_add_f32 v2, v53, v2 :: v_dual_add_f32 v3, v52, v3
	s_and_b32 s1, s1, s0
	s_delay_alu instid0(VALU_DEP_2) | instskip(NEXT) | instid1(VALU_DEP_2)
	v_dual_max_f32 v52, 0, v0 :: v_dual_max_f32 v53, 0, v1
	v_dual_max_f32 v54, 0, v2 :: v_dual_max_f32 v55, 0, v3
	s_mov_b32 s8, exec_lo
.LBB3_37:                               ; =>This Inner Loop Header: Depth=1
	v_readfirstlane_b32 s4, v18
	v_readfirstlane_b32 s5, v19
	;; [unrolled: 1-line block ×4, first 2 shown]
	s_delay_alu instid0(VALU_DEP_3) | instskip(NEXT) | instid1(VALU_DEP_2)
	v_cmp_eq_u64_e64 s2, s[4:5], v[18:19]
	v_cmp_eq_u64_e64 s3, s[6:7], v[20:21]
	s_delay_alu instid0(VALU_DEP_1) | instskip(NEXT) | instid1(SALU_CYCLE_1)
	s_and_b32 s2, s2, s3
	s_and_saveexec_b32 s2, s2
	buffer_load_b128 v[0:3], v9, s[4:7], 0 offen
                                        ; implicit-def: $vgpr9
	s_xor_b32 exec_lo, exec_lo, s2
	s_cbranch_execnz .LBB3_37
; %bb.38:
	s_mov_b32 exec_lo, s8
	s_waitcnt vmcnt(0)
	v_cndmask_b32_e64 v0, 0, v0, s1
	v_cndmask_b32_e64 v1, 0, v1, s1
	;; [unrolled: 1-line block ×4, first 2 shown]
	v_or_b32_e32 v144, 3, v161
	s_delay_alu instid0(VALU_DEP_4) | instskip(NEXT) | instid1(VALU_DEP_3)
	v_dual_add_f32 v0, v5, v0 :: v_dual_add_f32 v1, v70, v1
	v_dual_add_f32 v3, v69, v3 :: v_dual_add_f32 v2, v68, v2
	v_add_nc_u32_e32 v5, v8, v16
	s_delay_alu instid0(VALU_DEP_4) | instskip(NEXT) | instid1(VALU_DEP_4)
	v_cmp_gt_i32_e64 s1, v162, v144
	v_dual_max_f32 v68, 0, v0 :: v_dual_max_f32 v69, 0, v1
	s_delay_alu instid0(VALU_DEP_4) | instskip(NEXT) | instid1(VALU_DEP_4)
	v_dual_max_f32 v70, 0, v2 :: v_dual_max_f32 v71, 0, v3
	v_lshlrev_b32_e32 v8, 2, v5
	s_delay_alu instid0(VALU_DEP_4)
	s_and_b32 s2, s1, vcc_lo
	s_mov_b32 s5, exec_lo
.LBB3_39:                               ; =>This Inner Loop Header: Depth=1
	v_readfirstlane_b32 s8, v18
	v_readfirstlane_b32 s9, v19
	;; [unrolled: 1-line block ×4, first 2 shown]
	s_delay_alu instid0(VALU_DEP_3) | instskip(NEXT) | instid1(VALU_DEP_2)
	v_cmp_eq_u64_e64 s3, s[8:9], v[18:19]
	v_cmp_eq_u64_e64 s4, s[10:11], v[20:21]
	s_delay_alu instid0(VALU_DEP_1) | instskip(NEXT) | instid1(SALU_CYCLE_1)
	s_and_b32 s3, s3, s4
	s_and_saveexec_b32 s3, s3
	buffer_load_b128 v[0:3], v8, s[8:11], 0 offen
                                        ; implicit-def: $vgpr8
	s_xor_b32 exec_lo, exec_lo, s3
	s_cbranch_execnz .LBB3_39
; %bb.40:
	s_mov_b32 exec_lo, s5
	s_waitcnt vmcnt(0)
	v_cndmask_b32_e64 v0, 0, v0, s2
	v_cndmask_b32_e64 v1, 0, v1, s2
	;; [unrolled: 1-line block ×4, first 2 shown]
	v_add_lshl_u32 v8, v5, v17, 2
	s_delay_alu instid0(VALU_DEP_4) | instskip(NEXT) | instid1(VALU_DEP_3)
	v_dual_add_f32 v0, v37, v0 :: v_dual_add_f32 v1, v36, v1
	v_dual_add_f32 v2, v35, v2 :: v_dual_add_f32 v3, v34, v3
	s_and_b32 s1, s1, s0
	s_delay_alu instid0(VALU_DEP_2) | instskip(NEXT) | instid1(VALU_DEP_2)
	v_dual_max_f32 v34, 0, v0 :: v_dual_max_f32 v35, 0, v1
	v_dual_max_f32 v36, 0, v2 :: v_dual_max_f32 v37, 0, v3
	s_mov_b32 s8, exec_lo
.LBB3_41:                               ; =>This Inner Loop Header: Depth=1
	v_readfirstlane_b32 s4, v18
	v_readfirstlane_b32 s5, v19
	v_readfirstlane_b32 s6, v20
	v_readfirstlane_b32 s7, v21
	s_delay_alu instid0(VALU_DEP_3) | instskip(NEXT) | instid1(VALU_DEP_2)
	v_cmp_eq_u64_e64 s2, s[4:5], v[18:19]
	v_cmp_eq_u64_e64 s3, s[6:7], v[20:21]
	s_delay_alu instid0(VALU_DEP_1) | instskip(NEXT) | instid1(SALU_CYCLE_1)
	s_and_b32 s2, s2, s3
	s_and_saveexec_b32 s2, s2
	buffer_load_b128 v[0:3], v8, s[4:7], 0 offen
                                        ; implicit-def: $vgpr8
	s_xor_b32 exec_lo, exec_lo, s2
	s_cbranch_execnz .LBB3_41
; %bb.42:
	s_mov_b32 exec_lo, s8
	s_waitcnt vmcnt(0)
	v_cndmask_b32_e64 v0, 0, v0, s1
	v_cndmask_b32_e64 v1, 0, v1, s1
	;; [unrolled: 1-line block ×4, first 2 shown]
	v_mad_u64_u32 v[12:13], null, v16, 61, v[5:6]
	s_delay_alu instid0(VALU_DEP_3) | instskip(SKIP_1) | instid1(VALU_DEP_4)
	v_dual_add_f32 v3, v85, v3 :: v_dual_add_nc_u32 v134, 64, v161
	v_dual_add_f32 v0, v87, v0 :: v_dual_add_f32 v1, v86, v1
	v_add_f32_e32 v2, v84, v2
	s_delay_alu instid0(VALU_DEP_3) | instskip(NEXT) | instid1(VALU_DEP_3)
	v_cmp_gt_i32_e64 s1, v162, v134
	v_dual_max_f32 v87, 0, v3 :: v_dual_max_f32 v84, 0, v0
	s_delay_alu instid0(VALU_DEP_3) | instskip(SKIP_1) | instid1(VALU_DEP_4)
	v_dual_max_f32 v85, 0, v1 :: v_dual_max_f32 v86, 0, v2
	v_lshlrev_b32_e32 v5, 2, v12
	s_and_b32 s2, s1, vcc_lo
	s_mov_b32 s5, exec_lo
.LBB3_43:                               ; =>This Inner Loop Header: Depth=1
	v_readfirstlane_b32 s8, v18
	v_readfirstlane_b32 s9, v19
	;; [unrolled: 1-line block ×4, first 2 shown]
	s_delay_alu instid0(VALU_DEP_3) | instskip(NEXT) | instid1(VALU_DEP_2)
	v_cmp_eq_u64_e64 s3, s[8:9], v[18:19]
	v_cmp_eq_u64_e64 s4, s[10:11], v[20:21]
	s_delay_alu instid0(VALU_DEP_1) | instskip(NEXT) | instid1(SALU_CYCLE_1)
	s_and_b32 s3, s3, s4
	s_and_saveexec_b32 s3, s3
	buffer_load_b128 v[0:3], v5, s[8:11], 0 offen
                                        ; implicit-def: $vgpr5
	s_xor_b32 exec_lo, exec_lo, s3
	s_cbranch_execnz .LBB3_43
; %bb.44:
	s_mov_b32 exec_lo, s5
	s_waitcnt vmcnt(0)
	v_cndmask_b32_e64 v0, 0, v0, s2
	v_cndmask_b32_e64 v1, 0, v1, s2
	;; [unrolled: 1-line block ×4, first 2 shown]
	v_add_lshl_u32 v5, v12, v17, 2
	s_delay_alu instid0(VALU_DEP_4) | instskip(NEXT) | instid1(VALU_DEP_3)
	v_dual_add_f32 v0, v130, v0 :: v_dual_add_f32 v1, v133, v1
	v_dual_add_f32 v2, v132, v2 :: v_dual_add_f32 v3, v131, v3
	s_and_b32 s1, s1, s0
	s_delay_alu instid0(VALU_DEP_2) | instskip(NEXT) | instid1(VALU_DEP_2)
	v_dual_max_f32 v0, 0, v0 :: v_dual_max_f32 v1, 0, v1
	v_dual_max_f32 v2, 0, v2 :: v_dual_max_f32 v3, 0, v3
	s_mov_b32 s8, exec_lo
.LBB3_45:                               ; =>This Inner Loop Header: Depth=1
	v_readfirstlane_b32 s4, v18
	v_readfirstlane_b32 s5, v19
	;; [unrolled: 1-line block ×4, first 2 shown]
	s_delay_alu instid0(VALU_DEP_3) | instskip(NEXT) | instid1(VALU_DEP_2)
	v_cmp_eq_u64_e64 s2, s[4:5], v[18:19]
	v_cmp_eq_u64_e64 s3, s[6:7], v[20:21]
	s_delay_alu instid0(VALU_DEP_1) | instskip(NEXT) | instid1(SALU_CYCLE_1)
	s_and_b32 s2, s2, s3
	s_and_saveexec_b32 s2, s2
	buffer_load_b128 v[8:11], v5, s[4:7], 0 offen
                                        ; implicit-def: $vgpr5
	s_xor_b32 exec_lo, exec_lo, s2
	s_cbranch_execnz .LBB3_45
; %bb.46:
	s_mov_b32 exec_lo, s8
	s_waitcnt vmcnt(0)
	v_cndmask_b32_e64 v8, 0, v8, s1
	v_cndmask_b32_e64 v9, 0, v9, s1
	;; [unrolled: 1-line block ×4, first 2 shown]
	v_add_nc_u32_e32 v5, 0x41, v161
	v_add_f32_e32 v13, v50, v8
	v_dual_add_f32 v9, v51, v9 :: v_dual_add_nc_u32 v8, v12, v16
	s_delay_alu instid0(VALU_DEP_4) | instskip(SKIP_3) | instid1(VALU_DEP_4)
	v_add_f32_e32 v12, v48, v10
	v_add_f32_e32 v48, v49, v11
	v_cmp_gt_i32_e64 s1, v162, v5
	v_max_f32_e32 v10, 0, v13
	v_dual_max_f32 v11, 0, v9 :: v_dual_max_f32 v12, 0, v12
	s_delay_alu instid0(VALU_DEP_4)
	v_max_f32_e32 v13, 0, v48
	v_lshlrev_b32_e32 v9, 2, v8
	s_and_b32 s2, s1, vcc_lo
	s_mov_b32 s5, exec_lo
.LBB3_47:                               ; =>This Inner Loop Header: Depth=1
	v_readfirstlane_b32 s8, v18
	v_readfirstlane_b32 s9, v19
	;; [unrolled: 1-line block ×4, first 2 shown]
	s_delay_alu instid0(VALU_DEP_3) | instskip(NEXT) | instid1(VALU_DEP_2)
	v_cmp_eq_u64_e64 s3, s[8:9], v[18:19]
	v_cmp_eq_u64_e64 s4, s[10:11], v[20:21]
	s_delay_alu instid0(VALU_DEP_1) | instskip(NEXT) | instid1(SALU_CYCLE_1)
	s_and_b32 s3, s3, s4
	s_and_saveexec_b32 s3, s3
	buffer_load_b128 v[48:51], v9, s[8:11], 0 offen
                                        ; implicit-def: $vgpr9
	s_xor_b32 exec_lo, exec_lo, s3
	s_cbranch_execnz .LBB3_47
; %bb.48:
	s_mov_b32 exec_lo, s5
	s_waitcnt vmcnt(0)
	v_cndmask_b32_e64 v9, 0, v48, s2
	v_cndmask_b32_e64 v48, 0, v49, s2
	;; [unrolled: 1-line block ×4, first 2 shown]
	s_and_b32 s1, s1, s0
	v_add_f32_e32 v9, v67, v9
	s_mov_b32 s8, exec_lo
	s_delay_alu instid0(VALU_DEP_2) | instskip(NEXT) | instid1(VALU_DEP_2)
	v_dual_add_f32 v65, v65, v49 :: v_dual_add_f32 v64, v64, v50
	v_dual_add_f32 v51, v66, v48 :: v_dual_max_f32 v48, 0, v9
	v_add_lshl_u32 v9, v8, v17, 2
	s_delay_alu instid0(VALU_DEP_2) | instskip(NEXT) | instid1(VALU_DEP_4)
	v_dual_max_f32 v50, 0, v65 :: v_dual_max_f32 v49, 0, v51
	v_max_f32_e32 v51, 0, v64
.LBB3_49:                               ; =>This Inner Loop Header: Depth=1
	v_readfirstlane_b32 s4, v18
	v_readfirstlane_b32 s5, v19
	;; [unrolled: 1-line block ×4, first 2 shown]
	s_delay_alu instid0(VALU_DEP_3) | instskip(NEXT) | instid1(VALU_DEP_2)
	v_cmp_eq_u64_e64 s2, s[4:5], v[18:19]
	v_cmp_eq_u64_e64 s3, s[6:7], v[20:21]
	s_delay_alu instid0(VALU_DEP_1) | instskip(NEXT) | instid1(SALU_CYCLE_1)
	s_and_b32 s2, s2, s3
	s_and_saveexec_b32 s2, s2
	buffer_load_b128 v[64:67], v9, s[4:7], 0 offen
                                        ; implicit-def: $vgpr9
	s_xor_b32 exec_lo, exec_lo, s2
	s_cbranch_execnz .LBB3_49
; %bb.50:
	s_mov_b32 exec_lo, s8
	s_waitcnt vmcnt(0)
	v_cndmask_b32_e64 v9, 0, v64, s1
	v_cndmask_b32_e64 v64, 0, v65, s1
	;; [unrolled: 1-line block ×4, first 2 shown]
	v_add_nc_u32_e32 v130, 0x42, v161
	v_dual_add_f32 v9, v98, v9 :: v_dual_add_nc_u32 v8, v8, v16
	s_delay_alu instid0(VALU_DEP_3) | instskip(SKIP_1) | instid1(VALU_DEP_4)
	v_dual_add_f32 v67, v99, v64 :: v_dual_add_f32 v66, v96, v66
	v_add_f32_e32 v96, v97, v65
	v_cmp_gt_i32_e64 s1, v162, v130
	s_delay_alu instid0(VALU_DEP_3) | instskip(NEXT) | instid1(VALU_DEP_4)
	v_dual_max_f32 v64, 0, v9 :: v_dual_max_f32 v65, 0, v67
	v_dual_max_f32 v66, 0, v66 :: v_dual_lshlrev_b32 v9, 2, v8
	s_delay_alu instid0(VALU_DEP_4) | instskip(NEXT) | instid1(VALU_DEP_4)
	v_max_f32_e32 v67, 0, v96
	s_and_b32 s2, s1, vcc_lo
	s_mov_b32 s5, exec_lo
.LBB3_51:                               ; =>This Inner Loop Header: Depth=1
	v_readfirstlane_b32 s8, v18
	v_readfirstlane_b32 s9, v19
	;; [unrolled: 1-line block ×4, first 2 shown]
	s_delay_alu instid0(VALU_DEP_3) | instskip(NEXT) | instid1(VALU_DEP_2)
	v_cmp_eq_u64_e64 s3, s[8:9], v[18:19]
	v_cmp_eq_u64_e64 s4, s[10:11], v[20:21]
	s_delay_alu instid0(VALU_DEP_1) | instskip(NEXT) | instid1(SALU_CYCLE_1)
	s_and_b32 s3, s3, s4
	s_and_saveexec_b32 s3, s3
	buffer_load_b128 v[96:99], v9, s[8:11], 0 offen
                                        ; implicit-def: $vgpr9
	s_xor_b32 exec_lo, exec_lo, s3
	s_cbranch_execnz .LBB3_51
; %bb.52:
	s_mov_b32 exec_lo, s5
	s_waitcnt vmcnt(0)
	v_cndmask_b32_e64 v9, 0, v96, s2
	v_cndmask_b32_e64 v96, 0, v97, s2
	;; [unrolled: 1-line block ×4, first 2 shown]
	s_and_b32 s1, s1, s0
	v_add_f32_e32 v9, v103, v9
	s_mov_b32 s8, exec_lo
	s_delay_alu instid0(VALU_DEP_2) | instskip(NEXT) | instid1(VALU_DEP_2)
	v_dual_add_f32 v101, v101, v97 :: v_dual_add_f32 v100, v100, v98
	v_dual_add_f32 v99, v102, v96 :: v_dual_max_f32 v96, 0, v9
	v_add_lshl_u32 v9, v8, v17, 2
	s_delay_alu instid0(VALU_DEP_2) | instskip(NEXT) | instid1(VALU_DEP_4)
	v_dual_max_f32 v98, 0, v101 :: v_dual_max_f32 v97, 0, v99
	v_max_f32_e32 v99, 0, v100
.LBB3_53:                               ; =>This Inner Loop Header: Depth=1
	v_readfirstlane_b32 s4, v18
	v_readfirstlane_b32 s5, v19
	;; [unrolled: 1-line block ×4, first 2 shown]
	s_delay_alu instid0(VALU_DEP_3) | instskip(NEXT) | instid1(VALU_DEP_2)
	v_cmp_eq_u64_e64 s2, s[4:5], v[18:19]
	v_cmp_eq_u64_e64 s3, s[6:7], v[20:21]
	s_delay_alu instid0(VALU_DEP_1) | instskip(NEXT) | instid1(SALU_CYCLE_1)
	s_and_b32 s2, s2, s3
	s_and_saveexec_b32 s2, s2
	buffer_load_b128 v[100:103], v9, s[4:7], 0 offen
                                        ; implicit-def: $vgpr9
	s_xor_b32 exec_lo, exec_lo, s2
	s_cbranch_execnz .LBB3_53
; %bb.54:
	s_mov_b32 exec_lo, s8
	s_waitcnt vmcnt(0)
	v_cndmask_b32_e64 v9, 0, v100, s1
	v_cndmask_b32_e64 v100, 0, v101, s1
	;; [unrolled: 1-line block ×4, first 2 shown]
	v_add_nc_u32_e32 v131, 0x43, v161
	v_dual_add_f32 v9, v114, v9 :: v_dual_add_nc_u32 v8, v8, v16
	s_delay_alu instid0(VALU_DEP_3) | instskip(SKIP_1) | instid1(VALU_DEP_4)
	v_dual_add_f32 v103, v115, v100 :: v_dual_add_f32 v16, v112, v102
	v_add_f32_e32 v112, v113, v101
	v_cmp_gt_i32_e64 s1, v162, v131
	s_delay_alu instid0(VALU_DEP_3) | instskip(NEXT) | instid1(VALU_DEP_4)
	v_dual_max_f32 v100, 0, v9 :: v_dual_max_f32 v101, 0, v103
	v_max_f32_e32 v102, 0, v16
	s_delay_alu instid0(VALU_DEP_4)
	v_max_f32_e32 v103, 0, v112
	v_lshlrev_b32_e32 v9, 2, v8
	s_and_b32 vcc_lo, s1, vcc_lo
	s_mov_b32 s8, exec_lo
.LBB3_55:                               ; =>This Inner Loop Header: Depth=1
	v_readfirstlane_b32 s4, v18
	v_readfirstlane_b32 s5, v19
	;; [unrolled: 1-line block ×4, first 2 shown]
	s_delay_alu instid0(VALU_DEP_3) | instskip(NEXT) | instid1(VALU_DEP_2)
	v_cmp_eq_u64_e64 s2, s[4:5], v[18:19]
	v_cmp_eq_u64_e64 s3, s[6:7], v[20:21]
	s_delay_alu instid0(VALU_DEP_1) | instskip(NEXT) | instid1(SALU_CYCLE_1)
	s_and_b32 s2, s2, s3
	s_and_saveexec_b32 s2, s2
	buffer_load_b128 v[112:115], v9, s[4:7], 0 offen
                                        ; implicit-def: $vgpr9
	s_xor_b32 exec_lo, exec_lo, s2
	s_cbranch_execnz .LBB3_55
; %bb.56:
	s_mov_b32 exec_lo, s8
	s_waitcnt vmcnt(0)
	v_dual_cndmask_b32 v9, 0, v112 :: v_dual_cndmask_b32 v16, 0, v113
	v_dual_cndmask_b32 v112, 0, v114 :: v_dual_cndmask_b32 v113, 0, v115
	v_add_lshl_u32 v8, v8, v17, 2
	s_delay_alu instid0(VALU_DEP_3) | instskip(NEXT) | instid1(VALU_DEP_3)
	v_dual_add_f32 v9, v119, v9 :: v_dual_add_f32 v16, v118, v16
	v_dual_add_f32 v114, v116, v112 :: v_dual_add_f32 v115, v117, v113
	s_and_b32 vcc_lo, s1, s0
	s_delay_alu instid0(VALU_DEP_2) | instskip(NEXT) | instid1(VALU_DEP_2)
	v_dual_max_f32 v112, 0, v9 :: v_dual_max_f32 v113, 0, v16
	v_dual_max_f32 v114, 0, v114 :: v_dual_max_f32 v115, 0, v115
	s_mov_b32 s2, exec_lo
.LBB3_57:                               ; =>This Inner Loop Header: Depth=1
	v_readfirstlane_b32 s4, v18
	v_readfirstlane_b32 s5, v19
	;; [unrolled: 1-line block ×4, first 2 shown]
	s_delay_alu instid0(VALU_DEP_3) | instskip(NEXT) | instid1(VALU_DEP_2)
	v_cmp_eq_u64_e64 s0, s[4:5], v[18:19]
	v_cmp_eq_u64_e64 s1, s[6:7], v[20:21]
	s_delay_alu instid0(VALU_DEP_1) | instskip(NEXT) | instid1(SALU_CYCLE_1)
	s_and_b32 s0, s0, s1
	s_and_saveexec_b32 s0, s0
	buffer_load_b128 v[116:119], v8, s[4:7], 0 offen
                                        ; implicit-def: $vgpr18_vgpr19_vgpr20_vgpr21
                                        ; implicit-def: $vgpr8
	s_xor_b32 exec_lo, exec_lo, s0
	s_cbranch_execnz .LBB3_57
; %bb.58:
	s_mov_b32 exec_lo, s2
	s_clause 0x2
	flat_load_b64 v[8:9], v[14:15] offset:8
	flat_load_b32 v17, v[14:15] offset:32
	flat_load_b32 v18, v[14:15] offset:20
	s_waitcnt vmcnt(3)
	v_dual_cndmask_b32 v16, 0, v116 :: v_dual_cndmask_b32 v19, 0, v117
	v_cndmask_b32_e32 v20, 0, v118, vcc_lo
	s_mov_b32 s1, exec_lo
	s_delay_alu instid0(VALU_DEP_2) | instskip(NEXT) | instid1(VALU_DEP_2)
	v_dual_cndmask_b32 v21, 0, v119 :: v_dual_add_f32 v16, v128, v16
	v_dual_add_f32 v19, v38, v19 :: v_dual_add_f32 v38, v39, v20
	s_delay_alu instid0(VALU_DEP_2)
	v_dual_add_f32 v39, v129, v21 :: v_dual_max_f32 v16, 0, v16
	s_waitcnt vmcnt(2) lgkmcnt(2)
	v_mul_lo_u32 v8, v8, v161
	s_waitcnt vmcnt(1) lgkmcnt(1)
	v_cmp_gt_i32_e32 vcc_lo, v17, v151
	s_waitcnt vmcnt(0) lgkmcnt(0)
	v_cmp_gt_i32_e64 s0, v18, v161
	v_dual_max_f32 v17, 0, v19 :: v_dual_max_f32 v18, 0, v38
	v_max_f32_e32 v19, 0, v39
	s_delay_alu instid0(VALU_DEP_3) | instskip(SKIP_3) | instid1(VALU_DEP_2)
	s_and_b32 s0, s0, vcc_lo
	v_mad_u64_u32 v[20:21], null, v9, v151, v[8:9]
	v_cndmask_b32_e64 v21, 0x80000000, 0, s0
	v_dual_mov_b32 v9, 0x31004000 :: v_dual_lshlrev_b32 v8, 2, v4
	v_lshl_add_u32 v4, v20, 2, v21
.LBB3_59:                               ; =>This Inner Loop Header: Depth=1
	v_readfirstlane_b32 s4, v6
	v_readfirstlane_b32 s5, v7
	s_delay_alu instid0(VALU_DEP_4) | instskip(SKIP_1) | instid1(VALU_DEP_3)
	v_readfirstlane_b32 s6, v8
	v_readfirstlane_b32 s7, v9
	v_cmp_eq_u64_e32 vcc_lo, s[4:5], v[6:7]
	s_delay_alu instid0(VALU_DEP_2) | instskip(NEXT) | instid1(VALU_DEP_1)
	v_cmp_eq_u64_e64 s0, s[6:7], v[8:9]
	s_and_b32 s0, vcc_lo, s0
	s_delay_alu instid0(SALU_CYCLE_1)
	s_and_saveexec_b32 s0, s0
	buffer_store_b128 v[26:29], v4, s[4:7], 0 offen
                                        ; implicit-def: $vgpr26_vgpr27_vgpr28_vgpr29
                                        ; implicit-def: $vgpr4
	s_xor_b32 exec_lo, exec_lo, s0
	s_cbranch_execnz .LBB3_59
; %bb.60:
	s_mov_b32 exec_lo, s1
	s_clause 0x2
	flat_load_b32 v4, v[14:15] offset:32
	flat_load_b32 v21, v[14:15] offset:20
	;; [unrolled: 1-line block ×3, first 2 shown]
	s_mov_b32 s1, exec_lo
	s_waitcnt vmcnt(2) lgkmcnt(2)
	v_cmp_gt_i32_e32 vcc_lo, v4, v160
	s_waitcnt vmcnt(1) lgkmcnt(1)
	v_cmp_gt_i32_e64 s0, v21, v161
	s_waitcnt vmcnt(0) lgkmcnt(0)
	v_lshl_add_u32 v4, v26, 6, v20
	s_delay_alu instid0(VALU_DEP_2) | instskip(NEXT) | instid1(SALU_CYCLE_1)
	s_and_b32 s0, s0, vcc_lo
	v_cndmask_b32_e64 v20, 0x80000000, 0, s0
	s_delay_alu instid0(VALU_DEP_1)
	v_lshl_add_u32 v20, v4, 2, v20
.LBB3_61:                               ; =>This Inner Loop Header: Depth=1
	v_readfirstlane_b32 s4, v6
	v_readfirstlane_b32 s5, v7
	;; [unrolled: 1-line block ×4, first 2 shown]
	s_delay_alu instid0(VALU_DEP_3) | instskip(NEXT) | instid1(VALU_DEP_2)
	v_cmp_eq_u64_e32 vcc_lo, s[4:5], v[6:7]
	v_cmp_eq_u64_e64 s0, s[6:7], v[8:9]
	s_delay_alu instid0(VALU_DEP_1) | instskip(NEXT) | instid1(SALU_CYCLE_1)
	s_and_b32 s0, vcc_lo, s0
	s_and_saveexec_b32 s0, s0
	buffer_store_b128 v[30:33], v20, s[4:7], 0 offen
                                        ; implicit-def: $vgpr30_vgpr31_vgpr32_vgpr33
                                        ; implicit-def: $vgpr20
	s_xor_b32 exec_lo, exec_lo, s0
	s_cbranch_execnz .LBB3_61
; %bb.62:
	s_mov_b32 exec_lo, s1
	s_clause 0x2
	flat_load_b32 v20, v[14:15] offset:32
	flat_load_b32 v21, v[14:15] offset:20
	flat_load_b32 v26, v[14:15] offset:8
	s_mov_b32 s1, exec_lo
	s_waitcnt vmcnt(2) lgkmcnt(2)
	v_cmp_gt_i32_e32 vcc_lo, v20, v160
	s_waitcnt vmcnt(1) lgkmcnt(1)
	v_cmp_gt_i32_e64 s0, v21, v147
	s_waitcnt vmcnt(0) lgkmcnt(0)
	v_add_nc_u32_e32 v4, v26, v4
	s_delay_alu instid0(VALU_DEP_2) | instskip(NEXT) | instid1(SALU_CYCLE_1)
	s_and_b32 s0, s0, vcc_lo
	v_cndmask_b32_e64 v20, 0x80000000, 0, s0
	s_delay_alu instid0(VALU_DEP_1)
	v_lshl_add_u32 v20, v4, 2, v20
.LBB3_63:                               ; =>This Inner Loop Header: Depth=1
	v_readfirstlane_b32 s4, v6
	v_readfirstlane_b32 s5, v7
	;; [unrolled: 1-line block ×4, first 2 shown]
	s_delay_alu instid0(VALU_DEP_3) | instskip(NEXT) | instid1(VALU_DEP_2)
	v_cmp_eq_u64_e32 vcc_lo, s[4:5], v[6:7]
	v_cmp_eq_u64_e64 s0, s[6:7], v[8:9]
	s_delay_alu instid0(VALU_DEP_1) | instskip(NEXT) | instid1(SALU_CYCLE_1)
	s_and_b32 s0, vcc_lo, s0
	s_and_saveexec_b32 s0, s0
	buffer_store_b128 v[80:83], v20, s[4:7], 0 offen
                                        ; implicit-def: $vgpr80_vgpr81_vgpr82_vgpr83
                                        ; implicit-def: $vgpr20
	s_xor_b32 exec_lo, exec_lo, s0
	s_cbranch_execnz .LBB3_63
; %bb.64:
	s_mov_b32 exec_lo, s1
	s_clause 0x2
	flat_load_b32 v20, v[14:15] offset:12
	flat_load_b32 v21, v[14:15] offset:32
	;; [unrolled: 1-line block ×3, first 2 shown]
	s_mov_b32 s1, exec_lo
	s_waitcnt vmcnt(2) lgkmcnt(2)
	v_lshlrev_b32_e32 v20, 6, v20
	s_waitcnt vmcnt(1) lgkmcnt(1)
	v_cmp_gt_i32_e32 vcc_lo, v21, v151
	s_waitcnt vmcnt(0) lgkmcnt(0)
	v_cmp_gt_i32_e64 s0, v26, v147
	v_sub_nc_u32_e32 v4, v4, v20
	s_delay_alu instid0(VALU_DEP_2) | instskip(NEXT) | instid1(SALU_CYCLE_1)
	s_and_b32 s0, s0, vcc_lo
	v_cndmask_b32_e64 v20, 0x80000000, 0, s0
	s_delay_alu instid0(VALU_DEP_1)
	v_lshl_add_u32 v20, v4, 2, v20
.LBB3_65:                               ; =>This Inner Loop Header: Depth=1
	v_readfirstlane_b32 s4, v6
	v_readfirstlane_b32 s5, v7
	;; [unrolled: 1-line block ×4, first 2 shown]
	s_delay_alu instid0(VALU_DEP_3) | instskip(NEXT) | instid1(VALU_DEP_2)
	v_cmp_eq_u64_e32 vcc_lo, s[4:5], v[6:7]
	v_cmp_eq_u64_e64 s0, s[6:7], v[8:9]
	s_delay_alu instid0(VALU_DEP_1) | instskip(NEXT) | instid1(SALU_CYCLE_1)
	s_and_b32 s0, vcc_lo, s0
	s_and_saveexec_b32 s0, s0
	buffer_store_b128 v[22:25], v20, s[4:7], 0 offen
                                        ; implicit-def: $vgpr22_vgpr23_vgpr24_vgpr25
                                        ; implicit-def: $vgpr20
	s_xor_b32 exec_lo, exec_lo, s0
	s_cbranch_execnz .LBB3_65
; %bb.66:
	s_mov_b32 exec_lo, s1
	s_clause 0x2
	flat_load_b32 v20, v[14:15] offset:32
	flat_load_b32 v21, v[14:15] offset:20
	;; [unrolled: 1-line block ×3, first 2 shown]
	s_mov_b32 s1, exec_lo
	s_waitcnt vmcnt(2) lgkmcnt(2)
	v_cmp_gt_i32_e32 vcc_lo, v20, v151
	s_waitcnt vmcnt(1) lgkmcnt(1)
	v_cmp_gt_i32_e64 s0, v21, v135
	s_waitcnt vmcnt(0) lgkmcnt(0)
	v_add_nc_u32_e32 v4, v22, v4
	s_delay_alu instid0(VALU_DEP_2) | instskip(NEXT) | instid1(SALU_CYCLE_1)
	s_and_b32 s0, s0, vcc_lo
	v_cndmask_b32_e64 v20, 0x80000000, 0, s0
	s_delay_alu instid0(VALU_DEP_1)
	v_lshl_add_u32 v20, v4, 2, v20
.LBB3_67:                               ; =>This Inner Loop Header: Depth=1
	v_readfirstlane_b32 s4, v6
	v_readfirstlane_b32 s5, v7
	v_readfirstlane_b32 s6, v8
	v_readfirstlane_b32 s7, v9
	s_delay_alu instid0(VALU_DEP_3) | instskip(NEXT) | instid1(VALU_DEP_2)
	v_cmp_eq_u64_e32 vcc_lo, s[4:5], v[6:7]
	v_cmp_eq_u64_e64 s0, s[6:7], v[8:9]
	s_delay_alu instid0(VALU_DEP_1) | instskip(NEXT) | instid1(SALU_CYCLE_1)
	s_and_b32 s0, vcc_lo, s0
	s_and_saveexec_b32 s0, s0
	buffer_store_b128 v[52:55], v20, s[4:7], 0 offen
                                        ; implicit-def: $vgpr52_vgpr53_vgpr54_vgpr55
                                        ; implicit-def: $vgpr20
	s_xor_b32 exec_lo, exec_lo, s0
	s_cbranch_execnz .LBB3_67
; %bb.68:
	s_mov_b32 exec_lo, s1
	s_clause 0x2
	flat_load_b32 v20, v[14:15] offset:32
	flat_load_b32 v21, v[14:15] offset:20
	;; [unrolled: 1-line block ×3, first 2 shown]
	s_mov_b32 s1, exec_lo
	s_waitcnt vmcnt(2) lgkmcnt(2)
	v_cmp_gt_i32_e32 vcc_lo, v20, v160
	s_waitcnt vmcnt(1) lgkmcnt(1)
	v_cmp_gt_i32_e64 s0, v21, v135
	s_waitcnt vmcnt(0) lgkmcnt(0)
	v_lshl_add_u32 v4, v22, 6, v4
	s_delay_alu instid0(VALU_DEP_2) | instskip(NEXT) | instid1(SALU_CYCLE_1)
	s_and_b32 s0, s0, vcc_lo
	v_cndmask_b32_e64 v20, 0x80000000, 0, s0
	s_delay_alu instid0(VALU_DEP_1)
	v_lshl_add_u32 v20, v4, 2, v20
.LBB3_69:                               ; =>This Inner Loop Header: Depth=1
	v_readfirstlane_b32 s4, v6
	v_readfirstlane_b32 s5, v7
	;; [unrolled: 1-line block ×4, first 2 shown]
	s_delay_alu instid0(VALU_DEP_3) | instskip(NEXT) | instid1(VALU_DEP_2)
	v_cmp_eq_u64_e32 vcc_lo, s[4:5], v[6:7]
	v_cmp_eq_u64_e64 s0, s[6:7], v[8:9]
	s_delay_alu instid0(VALU_DEP_1) | instskip(NEXT) | instid1(SALU_CYCLE_1)
	s_and_b32 s0, vcc_lo, s0
	s_and_saveexec_b32 s0, s0
	buffer_store_b128 v[68:71], v20, s[4:7], 0 offen
                                        ; implicit-def: $vgpr68_vgpr69_vgpr70_vgpr71
                                        ; implicit-def: $vgpr20
	s_xor_b32 exec_lo, exec_lo, s0
	s_cbranch_execnz .LBB3_69
; %bb.70:
	s_mov_b32 exec_lo, s1
	s_clause 0x2
	flat_load_b32 v20, v[14:15] offset:32
	flat_load_b32 v21, v[14:15] offset:20
	;; [unrolled: 1-line block ×3, first 2 shown]
	s_mov_b32 s1, exec_lo
	s_waitcnt vmcnt(2) lgkmcnt(2)
	v_cmp_gt_i32_e32 vcc_lo, v20, v160
	s_waitcnt vmcnt(1) lgkmcnt(1)
	v_cmp_gt_i32_e64 s0, v21, v144
	s_waitcnt vmcnt(0) lgkmcnt(0)
	v_add_nc_u32_e32 v4, v22, v4
	s_delay_alu instid0(VALU_DEP_2) | instskip(NEXT) | instid1(SALU_CYCLE_1)
	s_and_b32 s0, s0, vcc_lo
	v_cndmask_b32_e64 v20, 0x80000000, 0, s0
	s_delay_alu instid0(VALU_DEP_1)
	v_lshl_add_u32 v20, v4, 2, v20
.LBB3_71:                               ; =>This Inner Loop Header: Depth=1
	v_readfirstlane_b32 s4, v6
	v_readfirstlane_b32 s5, v7
	v_readfirstlane_b32 s6, v8
	v_readfirstlane_b32 s7, v9
	s_delay_alu instid0(VALU_DEP_3) | instskip(NEXT) | instid1(VALU_DEP_2)
	v_cmp_eq_u64_e32 vcc_lo, s[4:5], v[6:7]
	v_cmp_eq_u64_e64 s0, s[6:7], v[8:9]
	s_delay_alu instid0(VALU_DEP_1) | instskip(NEXT) | instid1(SALU_CYCLE_1)
	s_and_b32 s0, vcc_lo, s0
	s_and_saveexec_b32 s0, s0
	buffer_store_b128 v[84:87], v20, s[4:7], 0 offen
                                        ; implicit-def: $vgpr84_vgpr85_vgpr86_vgpr87
                                        ; implicit-def: $vgpr20
	s_xor_b32 exec_lo, exec_lo, s0
	s_cbranch_execnz .LBB3_71
; %bb.72:
	s_mov_b32 exec_lo, s1
	s_clause 0x2
	flat_load_b32 v20, v[14:15] offset:12
	flat_load_b32 v21, v[14:15] offset:32
	;; [unrolled: 1-line block ×3, first 2 shown]
	s_mov_b32 s1, exec_lo
	s_waitcnt vmcnt(2) lgkmcnt(2)
	v_lshlrev_b32_e32 v20, 6, v20
	s_waitcnt vmcnt(1) lgkmcnt(1)
	v_cmp_gt_i32_e32 vcc_lo, v21, v151
	s_waitcnt vmcnt(0) lgkmcnt(0)
	v_cmp_gt_i32_e64 s0, v22, v144
	v_sub_nc_u32_e32 v4, v4, v20
	s_delay_alu instid0(VALU_DEP_2) | instskip(NEXT) | instid1(SALU_CYCLE_1)
	s_and_b32 s0, s0, vcc_lo
	v_cndmask_b32_e64 v21, 0x80000000, 0, s0
	s_delay_alu instid0(VALU_DEP_2) | instskip(NEXT) | instid1(VALU_DEP_1)
	v_lshlrev_b32_e32 v20, 2, v4
	v_add_nc_u32_e32 v21, v21, v20
.LBB3_73:                               ; =>This Inner Loop Header: Depth=1
	v_readfirstlane_b32 s4, v6
	v_readfirstlane_b32 s5, v7
	v_readfirstlane_b32 s6, v8
	v_readfirstlane_b32 s7, v9
	s_delay_alu instid0(VALU_DEP_3) | instskip(NEXT) | instid1(VALU_DEP_2)
	v_cmp_eq_u64_e32 vcc_lo, s[4:5], v[6:7]
	v_cmp_eq_u64_e64 s0, s[6:7], v[8:9]
	s_delay_alu instid0(VALU_DEP_1) | instskip(NEXT) | instid1(SALU_CYCLE_1)
	s_and_b32 s0, vcc_lo, s0
	s_and_saveexec_b32 s0, s0
	buffer_store_b128 v[34:37], v21, s[4:7], 0 offen
                                        ; implicit-def: $vgpr34_vgpr35_vgpr36_vgpr37
                                        ; implicit-def: $vgpr21
	s_xor_b32 exec_lo, exec_lo, s0
	s_cbranch_execnz .LBB3_73
; %bb.74:
	s_mov_b32 exec_lo, s1
	s_clause 0x2
	flat_load_b32 v22, v[14:15] offset:32
	flat_load_b32 v23, v[14:15] offset:20
	;; [unrolled: 1-line block ×3, first 2 shown]
	s_mov_b32 s1, exec_lo
	s_waitcnt vmcnt(2) lgkmcnt(2)
	v_cmp_gt_i32_e32 vcc_lo, v22, v151
	s_waitcnt vmcnt(1) lgkmcnt(1)
	v_cmp_gt_i32_e64 s0, v23, v131
	s_waitcnt vmcnt(0) lgkmcnt(0)
	v_lshlrev_b32_e32 v22, 8, v21
	s_delay_alu instid0(VALU_DEP_2) | instskip(NEXT) | instid1(SALU_CYCLE_1)
	s_and_b32 s0, s0, vcc_lo
	v_cndmask_b32_e64 v23, 0x80000000, 0, s0
	s_delay_alu instid0(VALU_DEP_1)
	v_add3_u32 v20, v22, v20, v23
.LBB3_75:                               ; =>This Inner Loop Header: Depth=1
	v_readfirstlane_b32 s4, v6
	v_readfirstlane_b32 s5, v7
	;; [unrolled: 1-line block ×4, first 2 shown]
	s_delay_alu instid0(VALU_DEP_3) | instskip(NEXT) | instid1(VALU_DEP_2)
	v_cmp_eq_u64_e32 vcc_lo, s[4:5], v[6:7]
	v_cmp_eq_u64_e64 s0, s[6:7], v[8:9]
	s_delay_alu instid0(VALU_DEP_1) | instskip(NEXT) | instid1(SALU_CYCLE_1)
	s_and_b32 s0, vcc_lo, s0
	s_and_saveexec_b32 s0, s0
	buffer_store_b128 v[112:115], v20, s[4:7], 0 offen
                                        ; implicit-def: $vgpr112_vgpr113_vgpr114_vgpr115
                                        ; implicit-def: $vgpr20
	s_xor_b32 exec_lo, exec_lo, s0
	s_cbranch_execnz .LBB3_75
; %bb.76:
	s_mov_b32 exec_lo, s1
	s_clause 0x2
	flat_load_b32 v20, v[14:15] offset:12
	flat_load_b32 v22, v[14:15] offset:32
	;; [unrolled: 1-line block ×3, first 2 shown]
	s_mov_b32 s1, exec_lo
	s_waitcnt vmcnt(2) lgkmcnt(2)
	v_add_nc_u32_e32 v20, v20, v21
	s_waitcnt vmcnt(1) lgkmcnt(1)
	v_cmp_gt_i32_e32 vcc_lo, v22, v160
	s_waitcnt vmcnt(0) lgkmcnt(0)
	v_cmp_gt_i32_e64 s0, v23, v131
	v_lshl_add_u32 v4, v20, 6, v4
	s_delay_alu instid0(VALU_DEP_2) | instskip(NEXT) | instid1(SALU_CYCLE_1)
	s_and_b32 s0, s0, vcc_lo
	v_cndmask_b32_e64 v20, 0x80000000, 0, s0
	s_delay_alu instid0(VALU_DEP_1)
	v_lshl_add_u32 v20, v4, 2, v20
.LBB3_77:                               ; =>This Inner Loop Header: Depth=1
	v_readfirstlane_b32 s4, v6
	v_readfirstlane_b32 s5, v7
	;; [unrolled: 1-line block ×4, first 2 shown]
	s_delay_alu instid0(VALU_DEP_3) | instskip(NEXT) | instid1(VALU_DEP_2)
	v_cmp_eq_u64_e32 vcc_lo, s[4:5], v[6:7]
	v_cmp_eq_u64_e64 s0, s[6:7], v[8:9]
	s_delay_alu instid0(VALU_DEP_1) | instskip(NEXT) | instid1(SALU_CYCLE_1)
	s_and_b32 s0, vcc_lo, s0
	s_and_saveexec_b32 s0, s0
	buffer_store_b128 v[16:19], v20, s[4:7], 0 offen
                                        ; implicit-def: $vgpr16_vgpr17_vgpr18_vgpr19
                                        ; implicit-def: $vgpr20
	s_xor_b32 exec_lo, exec_lo, s0
	s_cbranch_execnz .LBB3_77
; %bb.78:
	s_mov_b32 exec_lo, s1
	s_clause 0x2
	flat_load_b32 v16, v[14:15] offset:32
	flat_load_b32 v17, v[14:15] offset:20
	;; [unrolled: 1-line block ×3, first 2 shown]
	s_mov_b32 s1, exec_lo
	s_waitcnt vmcnt(2) lgkmcnt(2)
	v_cmp_gt_i32_e32 vcc_lo, v16, v160
	s_waitcnt vmcnt(1) lgkmcnt(1)
	v_cmp_ge_i32_e64 s0, v17, v131
	s_waitcnt vmcnt(0) lgkmcnt(0)
	v_sub_nc_u32_e32 v4, v4, v18
	s_delay_alu instid0(VALU_DEP_2) | instskip(NEXT) | instid1(SALU_CYCLE_1)
	s_and_b32 s0, s0, vcc_lo
	v_cndmask_b32_e64 v16, 0x80000000, 0, s0
	s_delay_alu instid0(VALU_DEP_1)
	v_lshl_add_u32 v16, v4, 2, v16
.LBB3_79:                               ; =>This Inner Loop Header: Depth=1
	v_readfirstlane_b32 s4, v6
	v_readfirstlane_b32 s5, v7
	v_readfirstlane_b32 s6, v8
	v_readfirstlane_b32 s7, v9
	s_delay_alu instid0(VALU_DEP_3) | instskip(NEXT) | instid1(VALU_DEP_2)
	v_cmp_eq_u64_e32 vcc_lo, s[4:5], v[6:7]
	v_cmp_eq_u64_e64 s0, s[6:7], v[8:9]
	s_delay_alu instid0(VALU_DEP_1) | instskip(NEXT) | instid1(SALU_CYCLE_1)
	s_and_b32 s0, vcc_lo, s0
	s_and_saveexec_b32 s0, s0
	buffer_store_b128 v[100:103], v16, s[4:7], 0 offen
                                        ; implicit-def: $vgpr100_vgpr101_vgpr102_vgpr103
                                        ; implicit-def: $vgpr16
	s_xor_b32 exec_lo, exec_lo, s0
	s_cbranch_execnz .LBB3_79
; %bb.80:
	s_mov_b32 exec_lo, s1
	s_clause 0x2
	flat_load_b32 v16, v[14:15] offset:12
	flat_load_b32 v17, v[14:15] offset:32
	;; [unrolled: 1-line block ×3, first 2 shown]
	s_mov_b32 s1, exec_lo
	s_waitcnt vmcnt(2) lgkmcnt(2)
	v_lshlrev_b32_e32 v16, 6, v16
	s_waitcnt vmcnt(1) lgkmcnt(1)
	v_cmp_gt_i32_e32 vcc_lo, v17, v151
	s_waitcnt vmcnt(0) lgkmcnt(0)
	v_cmp_gt_i32_e64 s0, v18, v130
	v_sub_nc_u32_e32 v4, v4, v16
	s_delay_alu instid0(VALU_DEP_2) | instskip(NEXT) | instid1(SALU_CYCLE_1)
	s_and_b32 s0, s0, vcc_lo
	v_cndmask_b32_e64 v16, 0x80000000, 0, s0
	s_delay_alu instid0(VALU_DEP_1)
	v_lshl_add_u32 v16, v4, 2, v16
.LBB3_81:                               ; =>This Inner Loop Header: Depth=1
	v_readfirstlane_b32 s4, v6
	v_readfirstlane_b32 s5, v7
	v_readfirstlane_b32 s6, v8
	v_readfirstlane_b32 s7, v9
	s_delay_alu instid0(VALU_DEP_3) | instskip(NEXT) | instid1(VALU_DEP_2)
	v_cmp_eq_u64_e32 vcc_lo, s[4:5], v[6:7]
	v_cmp_eq_u64_e64 s0, s[6:7], v[8:9]
	s_delay_alu instid0(VALU_DEP_1) | instskip(NEXT) | instid1(SALU_CYCLE_1)
	s_and_b32 s0, vcc_lo, s0
	s_and_saveexec_b32 s0, s0
	buffer_store_b128 v[96:99], v16, s[4:7], 0 offen
                                        ; implicit-def: $vgpr96_vgpr97_vgpr98_vgpr99
                                        ; implicit-def: $vgpr16
	s_xor_b32 exec_lo, exec_lo, s0
	s_cbranch_execnz .LBB3_81
; %bb.82:
	s_mov_b32 exec_lo, s1
	s_clause 0x2
	flat_load_b32 v16, v[14:15] offset:32
	flat_load_b32 v17, v[14:15] offset:20
	;; [unrolled: 1-line block ×3, first 2 shown]
	s_mov_b32 s1, exec_lo
	s_waitcnt vmcnt(2) lgkmcnt(2)
	v_cmp_gt_i32_e32 vcc_lo, v16, v151
	s_waitcnt vmcnt(1) lgkmcnt(1)
	v_cmp_ge_i32_e64 s0, v17, v130
	s_waitcnt vmcnt(0) lgkmcnt(0)
	v_sub_nc_u32_e32 v4, v4, v18
	s_delay_alu instid0(VALU_DEP_2) | instskip(NEXT) | instid1(SALU_CYCLE_1)
	s_and_b32 s0, s0, vcc_lo
	v_cndmask_b32_e64 v16, 0x80000000, 0, s0
	s_delay_alu instid0(VALU_DEP_1)
	v_lshl_add_u32 v16, v4, 2, v16
.LBB3_83:                               ; =>This Inner Loop Header: Depth=1
	v_readfirstlane_b32 s4, v6
	v_readfirstlane_b32 s5, v7
	;; [unrolled: 1-line block ×4, first 2 shown]
	s_delay_alu instid0(VALU_DEP_3) | instskip(NEXT) | instid1(VALU_DEP_2)
	v_cmp_eq_u64_e32 vcc_lo, s[4:5], v[6:7]
	v_cmp_eq_u64_e64 s0, s[6:7], v[8:9]
	s_delay_alu instid0(VALU_DEP_1) | instskip(NEXT) | instid1(SALU_CYCLE_1)
	s_and_b32 s0, vcc_lo, s0
	s_and_saveexec_b32 s0, s0
	buffer_store_b128 v[48:51], v16, s[4:7], 0 offen
                                        ; implicit-def: $vgpr48_vgpr49_vgpr50_vgpr51
                                        ; implicit-def: $vgpr16
	s_xor_b32 exec_lo, exec_lo, s0
	s_cbranch_execnz .LBB3_83
; %bb.84:
	s_mov_b32 exec_lo, s1
	s_clause 0x2
	flat_load_b32 v16, v[14:15] offset:32
	flat_load_b32 v17, v[14:15] offset:20
	;; [unrolled: 1-line block ×3, first 2 shown]
	s_mov_b32 s1, exec_lo
	s_waitcnt vmcnt(2) lgkmcnt(2)
	v_cmp_gt_i32_e32 vcc_lo, v16, v160
	s_waitcnt vmcnt(1) lgkmcnt(1)
	v_cmp_gt_i32_e64 s0, v17, v5
	s_waitcnt vmcnt(0) lgkmcnt(0)
	v_lshl_add_u32 v4, v18, 6, v4
	s_delay_alu instid0(VALU_DEP_2) | instskip(NEXT) | instid1(SALU_CYCLE_1)
	s_and_b32 s0, s0, vcc_lo
	v_cndmask_b32_e64 v16, 0x80000000, 0, s0
	s_delay_alu instid0(VALU_DEP_1)
	v_lshl_add_u32 v16, v4, 2, v16
.LBB3_85:                               ; =>This Inner Loop Header: Depth=1
	v_readfirstlane_b32 s4, v6
	v_readfirstlane_b32 s5, v7
	;; [unrolled: 1-line block ×4, first 2 shown]
	s_delay_alu instid0(VALU_DEP_3) | instskip(NEXT) | instid1(VALU_DEP_2)
	v_cmp_eq_u64_e32 vcc_lo, s[4:5], v[6:7]
	v_cmp_eq_u64_e64 s0, s[6:7], v[8:9]
	s_delay_alu instid0(VALU_DEP_1) | instskip(NEXT) | instid1(SALU_CYCLE_1)
	s_and_b32 s0, vcc_lo, s0
	s_and_saveexec_b32 s0, s0
	buffer_store_b128 v[64:67], v16, s[4:7], 0 offen
                                        ; implicit-def: $vgpr64_vgpr65_vgpr66_vgpr67
                                        ; implicit-def: $vgpr16
	s_xor_b32 exec_lo, exec_lo, s0
	s_cbranch_execnz .LBB3_85
; %bb.86:
	s_mov_b32 exec_lo, s1
	s_clause 0x2
	flat_load_b32 v16, v[14:15] offset:8
	flat_load_b32 v17, v[14:15] offset:32
	;; [unrolled: 1-line block ×3, first 2 shown]
	s_mov_b32 s1, exec_lo
	s_waitcnt vmcnt(2) lgkmcnt(2)
	v_sub_nc_u32_e32 v4, v4, v16
	s_waitcnt vmcnt(1) lgkmcnt(1)
	v_cmp_gt_i32_e32 vcc_lo, v17, v160
	s_waitcnt vmcnt(0) lgkmcnt(0)
	v_cmp_ge_i32_e64 s0, v18, v5
	v_lshlrev_b32_e32 v4, 2, v4
	s_delay_alu instid0(VALU_DEP_2) | instskip(NEXT) | instid1(SALU_CYCLE_1)
	s_and_b32 s0, s0, vcc_lo
	v_cndmask_b32_e64 v5, 0x80000000, 0, s0
	s_delay_alu instid0(VALU_DEP_1)
	v_add_nc_u32_e32 v5, v5, v4
.LBB3_87:                               ; =>This Inner Loop Header: Depth=1
	v_readfirstlane_b32 s4, v6
	v_readfirstlane_b32 s5, v7
	;; [unrolled: 1-line block ×4, first 2 shown]
	s_delay_alu instid0(VALU_DEP_3) | instskip(NEXT) | instid1(VALU_DEP_2)
	v_cmp_eq_u64_e32 vcc_lo, s[4:5], v[6:7]
	v_cmp_eq_u64_e64 s0, s[6:7], v[8:9]
	s_delay_alu instid0(VALU_DEP_1) | instskip(NEXT) | instid1(SALU_CYCLE_1)
	s_and_b32 s0, vcc_lo, s0
	s_and_saveexec_b32 s0, s0
	buffer_store_b128 v[10:13], v5, s[4:7], 0 offen
                                        ; implicit-def: $vgpr10_vgpr11_vgpr12_vgpr13
                                        ; implicit-def: $vgpr5
	s_xor_b32 exec_lo, exec_lo, s0
	s_cbranch_execnz .LBB3_87
; %bb.88:
	s_mov_b32 exec_lo, s1
	s_clause 0x2
	flat_load_b32 v5, v[14:15] offset:32
	flat_load_b32 v10, v[14:15] offset:12
	flat_load_b32 v11, v[14:15] offset:20
	s_mov_b32 s1, exec_lo
	s_waitcnt vmcnt(2) lgkmcnt(2)
	v_cmp_gt_i32_e32 vcc_lo, v5, v151
	s_waitcnt vmcnt(1) lgkmcnt(1)
	v_lshlrev_b32_e32 v5, 8, v10
	s_waitcnt vmcnt(0) lgkmcnt(0)
	v_cmp_gt_i32_e64 s0, v11, v134
	s_delay_alu instid0(VALU_DEP_2) | instskip(NEXT) | instid1(VALU_DEP_2)
	v_sub_nc_u32_e32 v4, v4, v5
	s_and_b32 s0, s0, vcc_lo
	s_delay_alu instid0(SALU_CYCLE_1) | instskip(NEXT) | instid1(VALU_DEP_1)
	v_cndmask_b32_e64 v5, 0x80000000, 0, s0
	v_add_nc_u32_e32 v4, v4, v5
.LBB3_89:                               ; =>This Inner Loop Header: Depth=1
	v_readfirstlane_b32 s4, v6
	v_readfirstlane_b32 s5, v7
	;; [unrolled: 1-line block ×4, first 2 shown]
	s_delay_alu instid0(VALU_DEP_3) | instskip(NEXT) | instid1(VALU_DEP_2)
	v_cmp_eq_u64_e32 vcc_lo, s[4:5], v[6:7]
	v_cmp_eq_u64_e64 s0, s[6:7], v[8:9]
	s_delay_alu instid0(VALU_DEP_1) | instskip(NEXT) | instid1(SALU_CYCLE_1)
	s_and_b32 s0, vcc_lo, s0
	s_and_saveexec_b32 s0, s0
	buffer_store_b128 v[0:3], v4, s[4:7], 0 offen
                                        ; implicit-def: $vgpr6_vgpr7_vgpr8_vgpr9
                                        ; implicit-def: $vgpr0_vgpr1_vgpr2_vgpr3
                                        ; implicit-def: $vgpr4
	s_xor_b32 exec_lo, exec_lo, s0
	s_cbranch_execnz .LBB3_89
; %bb.90:
	s_mov_b32 exec_lo, s1
	s_setpc_b64 s[30:31]
.Lfunc_end3:
	.size	_ZN2ck32GridwiseGemmDlMultipleD_km_kn_mnILi256EffNS_5TupleIJfEEEfNS_16tensor_operation12element_wise11PassThroughES5_NS4_7AddReluELNS_25InMemoryDataOperationEnumE0ENS_16TensorDescriptorINS1_IJNS_5EmbedINS1_IJiiiEEESA_Lb0EEENS_11PassThroughIiEENS_3PadIiiiLb0EEESD_SD_NS9_INS1_IJiiEEESG_Lb0EEESD_NS_23Merge_v2_magic_divisionISG_EESJ_NS_8RightPadIiiLb0EEESL_NS_7UnMergeISG_Lb0EEESD_EEENS1_IJNS_8SequenceIJLi0EEEENSP_IJLi1EEEENSP_IJLi2EEEENSP_IJLi3EEEENSP_IJLi4EEEENSP_IJLi5EEEENSP_IJLi6EEEENSP_IJLi7ELi9EEEENSP_IJLi8ELi10EEEENSP_IJLi11EEEENSP_IJLi12EEEENSP_IJLi14EEEENSP_IJLi13EEEEEEENS1_IJNSP_IJLi1ELi2ELi3EEEESU_SV_SW_NSP_IJLi7EEEENSP_IJLi8ELi9EEEENSP_IJLi10EEEESZ_S10_S12_S11_NSP_IJLi15ELi16EEEENSP_IJLi17EEEEEEENSP_IJLi15ELi17ELi16EEEElEENS8_INS1_IJSN_SL_SL_SN_SD_EEENS1_IJSQ_SR_SS_SU_ST_EEENS1_IJNSP_IJLi1ELi2EEEEST_SU_NSP_IJLi5ELi6EEEES15_EEENSP_IJLi5ELi7ELi6EEEElEENS8_INS1_IJSH_SL_SL_EEENS1_IJSQ_SR_SS_EEENS1_IJS1F_ST_SU_EEENSP_IJLi3ELi4EEEElEELi128ELi128ELi16ELi1ELi4ELi4ELi1ENSP_IJLi8ELi2EEEES1P_NSP_IJLi8ELi1ELi1ELi1EEEENSP_IJLi2ELi1ELi128ELi1EEEENSP_IJLi1ELi2ELi0ELi3EEEES1S_NSP_IJLi4ELi1ELi1ELi1EEEES1S_NSP_IJLi1ELi1ELi1ELi1EEEES1Q_S1R_S1S_S1S_S1T_S1S_S1U_NSP_IJLi0ELi1ELi2ELi3ELi4ELi5EEEELi5ELi4EE3RunINS1_IJNS8_INS1_IJSH_SL_SL_NSM_INS1_IJiNS_17integral_constantIiLi2EEENS1Y_IiLi64EEEEEELb0EEES22_EEENS1_IJSQ_SR_SS_ST_SU_EEENS1_IJS1F_ST_SU_NSP_IJLi5ELi6ELi7EEEENSP_IJLi8ELi9ELi10EEEEEEENSP_IJLi5ELi6ELi7ELi8ELi9ELi10EEEElEEEEELb1ELb0ENS_31BlockToCTileMap_M00_N00_M01_N01ILi128ELi128ES1O_Lb0EEEEEvPKfS2E_NS1_IJS2E_EEEPfPvRKS5_S2J_RKS6_RKNS8_INS1_IJSB_SD_SF_SD_SD_SH_SD_SJ_SJ_SL_SL_SN_SD_SD_NSM_INS1_IJiNS1Y_IiLi128EEEEEELb0EEENSC_INS1Y_IiLi1EEEEEEEENS1_IJSQ_SR_SS_ST_SU_SV_SW_SX_SY_SZ_S10_S11_S12_NSP_IJLi15EEEES19_NSP_IJLi16EEEEEEENS1_IJS14_SU_SV_SW_S15_S16_S17_SZ_S10_S12_S11_S18_S19_NSP_IJLi18EEEENSP_IJLi19ELi20EEEENSP_IJLi21EEEEEEENSP_IJLi18ELi19ELi20ELi21EEEElEERKNS8_INS1_IJSN_SL_SL_SN_SD_SD_S2O_S2Q_EEENS1_IJSQ_SR_SS_SU_ST_SV_S15_SW_EEENS1_IJS1F_ST_SU_S1G_S15_NSP_IJLi8EEEENSP_IJLi9ELi10EEEESZ_EEENSP_IJLi8ELi9ELi10ELi11EEEElEERKT_RKS29_RKT2_NS1Y_IbXT0_EEENS1Y_IbXT1_EEE, .Lfunc_end3-_ZN2ck32GridwiseGemmDlMultipleD_km_kn_mnILi256EffNS_5TupleIJfEEEfNS_16tensor_operation12element_wise11PassThroughES5_NS4_7AddReluELNS_25InMemoryDataOperationEnumE0ENS_16TensorDescriptorINS1_IJNS_5EmbedINS1_IJiiiEEESA_Lb0EEENS_11PassThroughIiEENS_3PadIiiiLb0EEESD_SD_NS9_INS1_IJiiEEESG_Lb0EEESD_NS_23Merge_v2_magic_divisionISG_EESJ_NS_8RightPadIiiLb0EEESL_NS_7UnMergeISG_Lb0EEESD_EEENS1_IJNS_8SequenceIJLi0EEEENSP_IJLi1EEEENSP_IJLi2EEEENSP_IJLi3EEEENSP_IJLi4EEEENSP_IJLi5EEEENSP_IJLi6EEEENSP_IJLi7ELi9EEEENSP_IJLi8ELi10EEEENSP_IJLi11EEEENSP_IJLi12EEEENSP_IJLi14EEEENSP_IJLi13EEEEEEENS1_IJNSP_IJLi1ELi2ELi3EEEESU_SV_SW_NSP_IJLi7EEEENSP_IJLi8ELi9EEEENSP_IJLi10EEEESZ_S10_S12_S11_NSP_IJLi15ELi16EEEENSP_IJLi17EEEEEEENSP_IJLi15ELi17ELi16EEEElEENS8_INS1_IJSN_SL_SL_SN_SD_EEENS1_IJSQ_SR_SS_SU_ST_EEENS1_IJNSP_IJLi1ELi2EEEEST_SU_NSP_IJLi5ELi6EEEES15_EEENSP_IJLi5ELi7ELi6EEEElEENS8_INS1_IJSH_SL_SL_EEENS1_IJSQ_SR_SS_EEENS1_IJS1F_ST_SU_EEENSP_IJLi3ELi4EEEElEELi128ELi128ELi16ELi1ELi4ELi4ELi1ENSP_IJLi8ELi2EEEES1P_NSP_IJLi8ELi1ELi1ELi1EEEENSP_IJLi2ELi1ELi128ELi1EEEENSP_IJLi1ELi2ELi0ELi3EEEES1S_NSP_IJLi4ELi1ELi1ELi1EEEES1S_NSP_IJLi1ELi1ELi1ELi1EEEES1Q_S1R_S1S_S1S_S1T_S1S_S1U_NSP_IJLi0ELi1ELi2ELi3ELi4ELi5EEEELi5ELi4EE3RunINS1_IJNS8_INS1_IJSH_SL_SL_NSM_INS1_IJiNS_17integral_constantIiLi2EEENS1Y_IiLi64EEEEEELb0EEES22_EEENS1_IJSQ_SR_SS_ST_SU_EEENS1_IJS1F_ST_SU_NSP_IJLi5ELi6ELi7EEEENSP_IJLi8ELi9ELi10EEEEEEENSP_IJLi5ELi6ELi7ELi8ELi9ELi10EEEElEEEEELb1ELb0ENS_31BlockToCTileMap_M00_N00_M01_N01ILi128ELi128ES1O_Lb0EEEEEvPKfS2E_NS1_IJS2E_EEEPfPvRKS5_S2J_RKS6_RKNS8_INS1_IJSB_SD_SF_SD_SD_SH_SD_SJ_SJ_SL_SL_SN_SD_SD_NSM_INS1_IJiNS1Y_IiLi128EEEEEELb0EEENSC_INS1Y_IiLi1EEEEEEEENS1_IJSQ_SR_SS_ST_SU_SV_SW_SX_SY_SZ_S10_S11_S12_NSP_IJLi15EEEES19_NSP_IJLi16EEEEEEENS1_IJS14_SU_SV_SW_S15_S16_S17_SZ_S10_S12_S11_S18_S19_NSP_IJLi18EEEENSP_IJLi19ELi20EEEENSP_IJLi21EEEEEEENSP_IJLi18ELi19ELi20ELi21EEEElEERKNS8_INS1_IJSN_SL_SL_SN_SD_SD_S2O_S2Q_EEENS1_IJSQ_SR_SS_SU_ST_SV_S15_SW_EEENS1_IJS1F_ST_SU_S1G_S15_NSP_IJLi8EEEENSP_IJLi9ELi10EEEESZ_EEENSP_IJLi8ELi9ELi10ELi11EEEElEERKT_RKS29_RKT2_NS1Y_IbXT0_EEENS1Y_IbXT1_EEE
                                        ; -- End function
	.section	.AMDGPU.csdata,"",@progbits
; Function info:
; codeLenInByte = 72716
; NumSgprs: 34
; NumVgprs: 242
; ScratchSize: 0
; MemoryBound: 0
	.section	.text._ZN2ck16tensor_operation6device12_GLOBAL__N_137kernel_grouped_conv_fwd_dl_multiple_dINS_32GridwiseGemmDlMultipleD_km_kn_mnILi256EffNS_5TupleIJfEEEfNS0_12element_wise11PassThroughES8_NS7_7AddReluELNS_25InMemoryDataOperationEnumE0ENS_16TensorDescriptorINS5_IJNS_5EmbedINS5_IJiiiEEESD_Lb0EEENS_11PassThroughIiEENS_3PadIiiiLb0EEESG_SG_NSC_INS5_IJiiEEESJ_Lb0EEESG_NS_23Merge_v2_magic_divisionISJ_EESM_NS_8RightPadIiiLb0EEESO_NS_7UnMergeISJ_Lb0EEESG_EEENS5_IJNS_8SequenceIJLi0EEEENSS_IJLi1EEEENSS_IJLi2EEEENSS_IJLi3EEEENSS_IJLi4EEEENSS_IJLi5EEEENSS_IJLi6EEEENSS_IJLi7ELi9EEEENSS_IJLi8ELi10EEEENSS_IJLi11EEEENSS_IJLi12EEEENSS_IJLi14EEEENSS_IJLi13EEEEEEENS5_IJNSS_IJLi1ELi2ELi3EEEESX_SY_SZ_NSS_IJLi7EEEENSS_IJLi8ELi9EEEENSS_IJLi10EEEES12_S13_S15_S14_NSS_IJLi15ELi16EEEENSS_IJLi17EEEEEEENSS_IJLi15ELi17ELi16EEEElEENSB_INS5_IJSQ_SO_SO_SQ_SG_EEENS5_IJST_SU_SV_SX_SW_EEENS5_IJNSS_IJLi1ELi2EEEESW_SX_NSS_IJLi5ELi6EEEES18_EEENSS_IJLi5ELi7ELi6EEEElEENSB_INS5_IJSK_SO_SO_EEENS5_IJST_SU_SV_EEENS5_IJS1I_SW_SX_EEENSS_IJLi3ELi4EEEElEELi128ELi128ELi16ELi1ELi4ELi4ELi1ENSS_IJLi8ELi2EEEES1S_NSS_IJLi8ELi1ELi1ELi1EEEENSS_IJLi2ELi1ELi128ELi1EEEENSS_IJLi1ELi2ELi0ELi3EEEES1V_NSS_IJLi4ELi1ELi1ELi1EEEES1V_NSS_IJLi1ELi1ELi1ELi1EEEES1T_S1U_S1V_S1V_S1W_S1V_S1X_NSS_IJLi0ELi1ELi2ELi3ELi4ELi5EEEELi5ELi4EEEfNS5_IJPKfEEEfS8_S8_S9_NSB_INS5_IJSE_SG_SI_SG_SG_SK_SG_SM_SM_SO_SO_SQ_SG_SG_NSP_INS5_IJiNS_17integral_constantIiLi128EEEEEELb0EEENSF_INS23_IiLi1EEEEEEEENS5_IJST_SU_SV_SW_SX_SY_SZ_S10_S11_S12_S13_S14_S15_NSS_IJLi15EEEES1C_NSS_IJLi16EEEEEEENS5_IJS17_SX_SY_SZ_S18_S19_S1A_S12_S13_S15_S14_S1B_S1C_NSS_IJLi18EEEENSS_IJLi19ELi20EEEENSS_IJLi21EEEEEEENSS_IJLi18ELi19ELi20ELi21EEEElEENSB_INS5_IJSQ_SO_SO_SQ_SG_SG_S26_S28_EEENS5_IJST_SU_SV_SX_SW_SY_S18_SZ_EEENS5_IJS1I_SW_SX_S1J_S18_NSS_IJLi8EEEENSS_IJLi9ELi10EEEES12_EEENSS_IJLi8ELi9ELi10ELi11EEEElEENS5_IJNSB_INS5_IJSK_SO_SO_NSP_INS5_IJiNS23_IiLi2EEENS23_IiLi64EEEEEELb0EEES2T_EEENS5_IJST_SU_SV_SW_SX_EEENS5_IJS1I_SW_SX_NSS_IJLi5ELi6ELi7EEEENSS_IJLi8ELi9ELi10EEEEEEENSS_IJLi5ELi6ELi7ELi8ELi9ELi10EEEElEEEEES30_NS_31BlockToCTileMap_M00_N00_M01_N01ILi128ELi128ES1R_Lb0EEENS1_30ComputePtrOffsetOfStridedBatchILi1ELi1ELi1EvEELb1ELb0EEEvPKT0_S38_T1_PT2_T3_T4_T5_iT6_T7_T8_T9_T10_T11_,"axG",@progbits,_ZN2ck16tensor_operation6device12_GLOBAL__N_137kernel_grouped_conv_fwd_dl_multiple_dINS_32GridwiseGemmDlMultipleD_km_kn_mnILi256EffNS_5TupleIJfEEEfNS0_12element_wise11PassThroughES8_NS7_7AddReluELNS_25InMemoryDataOperationEnumE0ENS_16TensorDescriptorINS5_IJNS_5EmbedINS5_IJiiiEEESD_Lb0EEENS_11PassThroughIiEENS_3PadIiiiLb0EEESG_SG_NSC_INS5_IJiiEEESJ_Lb0EEESG_NS_23Merge_v2_magic_divisionISJ_EESM_NS_8RightPadIiiLb0EEESO_NS_7UnMergeISJ_Lb0EEESG_EEENS5_IJNS_8SequenceIJLi0EEEENSS_IJLi1EEEENSS_IJLi2EEEENSS_IJLi3EEEENSS_IJLi4EEEENSS_IJLi5EEEENSS_IJLi6EEEENSS_IJLi7ELi9EEEENSS_IJLi8ELi10EEEENSS_IJLi11EEEENSS_IJLi12EEEENSS_IJLi14EEEENSS_IJLi13EEEEEEENS5_IJNSS_IJLi1ELi2ELi3EEEESX_SY_SZ_NSS_IJLi7EEEENSS_IJLi8ELi9EEEENSS_IJLi10EEEES12_S13_S15_S14_NSS_IJLi15ELi16EEEENSS_IJLi17EEEEEEENSS_IJLi15ELi17ELi16EEEElEENSB_INS5_IJSQ_SO_SO_SQ_SG_EEENS5_IJST_SU_SV_SX_SW_EEENS5_IJNSS_IJLi1ELi2EEEESW_SX_NSS_IJLi5ELi6EEEES18_EEENSS_IJLi5ELi7ELi6EEEElEENSB_INS5_IJSK_SO_SO_EEENS5_IJST_SU_SV_EEENS5_IJS1I_SW_SX_EEENSS_IJLi3ELi4EEEElEELi128ELi128ELi16ELi1ELi4ELi4ELi1ENSS_IJLi8ELi2EEEES1S_NSS_IJLi8ELi1ELi1ELi1EEEENSS_IJLi2ELi1ELi128ELi1EEEENSS_IJLi1ELi2ELi0ELi3EEEES1V_NSS_IJLi4ELi1ELi1ELi1EEEES1V_NSS_IJLi1ELi1ELi1ELi1EEEES1T_S1U_S1V_S1V_S1W_S1V_S1X_NSS_IJLi0ELi1ELi2ELi3ELi4ELi5EEEELi5ELi4EEEfNS5_IJPKfEEEfS8_S8_S9_NSB_INS5_IJSE_SG_SI_SG_SG_SK_SG_SM_SM_SO_SO_SQ_SG_SG_NSP_INS5_IJiNS_17integral_constantIiLi128EEEEEELb0EEENSF_INS23_IiLi1EEEEEEEENS5_IJST_SU_SV_SW_SX_SY_SZ_S10_S11_S12_S13_S14_S15_NSS_IJLi15EEEES1C_NSS_IJLi16EEEEEEENS5_IJS17_SX_SY_SZ_S18_S19_S1A_S12_S13_S15_S14_S1B_S1C_NSS_IJLi18EEEENSS_IJLi19ELi20EEEENSS_IJLi21EEEEEEENSS_IJLi18ELi19ELi20ELi21EEEElEENSB_INS5_IJSQ_SO_SO_SQ_SG_SG_S26_S28_EEENS5_IJST_SU_SV_SX_SW_SY_S18_SZ_EEENS5_IJS1I_SW_SX_S1J_S18_NSS_IJLi8EEEENSS_IJLi9ELi10EEEES12_EEENSS_IJLi8ELi9ELi10ELi11EEEElEENS5_IJNSB_INS5_IJSK_SO_SO_NSP_INS5_IJiNS23_IiLi2EEENS23_IiLi64EEEEEELb0EEES2T_EEENS5_IJST_SU_SV_SW_SX_EEENS5_IJS1I_SW_SX_NSS_IJLi5ELi6ELi7EEEENSS_IJLi8ELi9ELi10EEEEEEENSS_IJLi5ELi6ELi7ELi8ELi9ELi10EEEElEEEEES30_NS_31BlockToCTileMap_M00_N00_M01_N01ILi128ELi128ES1R_Lb0EEENS1_30ComputePtrOffsetOfStridedBatchILi1ELi1ELi1EvEELb1ELb0EEEvPKT0_S38_T1_PT2_T3_T4_T5_iT6_T7_T8_T9_T10_T11_,comdat
	.globl	_ZN2ck16tensor_operation6device12_GLOBAL__N_137kernel_grouped_conv_fwd_dl_multiple_dINS_32GridwiseGemmDlMultipleD_km_kn_mnILi256EffNS_5TupleIJfEEEfNS0_12element_wise11PassThroughES8_NS7_7AddReluELNS_25InMemoryDataOperationEnumE0ENS_16TensorDescriptorINS5_IJNS_5EmbedINS5_IJiiiEEESD_Lb0EEENS_11PassThroughIiEENS_3PadIiiiLb0EEESG_SG_NSC_INS5_IJiiEEESJ_Lb0EEESG_NS_23Merge_v2_magic_divisionISJ_EESM_NS_8RightPadIiiLb0EEESO_NS_7UnMergeISJ_Lb0EEESG_EEENS5_IJNS_8SequenceIJLi0EEEENSS_IJLi1EEEENSS_IJLi2EEEENSS_IJLi3EEEENSS_IJLi4EEEENSS_IJLi5EEEENSS_IJLi6EEEENSS_IJLi7ELi9EEEENSS_IJLi8ELi10EEEENSS_IJLi11EEEENSS_IJLi12EEEENSS_IJLi14EEEENSS_IJLi13EEEEEEENS5_IJNSS_IJLi1ELi2ELi3EEEESX_SY_SZ_NSS_IJLi7EEEENSS_IJLi8ELi9EEEENSS_IJLi10EEEES12_S13_S15_S14_NSS_IJLi15ELi16EEEENSS_IJLi17EEEEEEENSS_IJLi15ELi17ELi16EEEElEENSB_INS5_IJSQ_SO_SO_SQ_SG_EEENS5_IJST_SU_SV_SX_SW_EEENS5_IJNSS_IJLi1ELi2EEEESW_SX_NSS_IJLi5ELi6EEEES18_EEENSS_IJLi5ELi7ELi6EEEElEENSB_INS5_IJSK_SO_SO_EEENS5_IJST_SU_SV_EEENS5_IJS1I_SW_SX_EEENSS_IJLi3ELi4EEEElEELi128ELi128ELi16ELi1ELi4ELi4ELi1ENSS_IJLi8ELi2EEEES1S_NSS_IJLi8ELi1ELi1ELi1EEEENSS_IJLi2ELi1ELi128ELi1EEEENSS_IJLi1ELi2ELi0ELi3EEEES1V_NSS_IJLi4ELi1ELi1ELi1EEEES1V_NSS_IJLi1ELi1ELi1ELi1EEEES1T_S1U_S1V_S1V_S1W_S1V_S1X_NSS_IJLi0ELi1ELi2ELi3ELi4ELi5EEEELi5ELi4EEEfNS5_IJPKfEEEfS8_S8_S9_NSB_INS5_IJSE_SG_SI_SG_SG_SK_SG_SM_SM_SO_SO_SQ_SG_SG_NSP_INS5_IJiNS_17integral_constantIiLi128EEEEEELb0EEENSF_INS23_IiLi1EEEEEEEENS5_IJST_SU_SV_SW_SX_SY_SZ_S10_S11_S12_S13_S14_S15_NSS_IJLi15EEEES1C_NSS_IJLi16EEEEEEENS5_IJS17_SX_SY_SZ_S18_S19_S1A_S12_S13_S15_S14_S1B_S1C_NSS_IJLi18EEEENSS_IJLi19ELi20EEEENSS_IJLi21EEEEEEENSS_IJLi18ELi19ELi20ELi21EEEElEENSB_INS5_IJSQ_SO_SO_SQ_SG_SG_S26_S28_EEENS5_IJST_SU_SV_SX_SW_SY_S18_SZ_EEENS5_IJS1I_SW_SX_S1J_S18_NSS_IJLi8EEEENSS_IJLi9ELi10EEEES12_EEENSS_IJLi8ELi9ELi10ELi11EEEElEENS5_IJNSB_INS5_IJSK_SO_SO_NSP_INS5_IJiNS23_IiLi2EEENS23_IiLi64EEEEEELb0EEES2T_EEENS5_IJST_SU_SV_SW_SX_EEENS5_IJS1I_SW_SX_NSS_IJLi5ELi6ELi7EEEENSS_IJLi8ELi9ELi10EEEEEEENSS_IJLi5ELi6ELi7ELi8ELi9ELi10EEEElEEEEES30_NS_31BlockToCTileMap_M00_N00_M01_N01ILi128ELi128ES1R_Lb0EEENS1_30ComputePtrOffsetOfStridedBatchILi1ELi1ELi1EvEELb1ELb0EEEvPKT0_S38_T1_PT2_T3_T4_T5_iT6_T7_T8_T9_T10_T11_ ; -- Begin function _ZN2ck16tensor_operation6device12_GLOBAL__N_137kernel_grouped_conv_fwd_dl_multiple_dINS_32GridwiseGemmDlMultipleD_km_kn_mnILi256EffNS_5TupleIJfEEEfNS0_12element_wise11PassThroughES8_NS7_7AddReluELNS_25InMemoryDataOperationEnumE0ENS_16TensorDescriptorINS5_IJNS_5EmbedINS5_IJiiiEEESD_Lb0EEENS_11PassThroughIiEENS_3PadIiiiLb0EEESG_SG_NSC_INS5_IJiiEEESJ_Lb0EEESG_NS_23Merge_v2_magic_divisionISJ_EESM_NS_8RightPadIiiLb0EEESO_NS_7UnMergeISJ_Lb0EEESG_EEENS5_IJNS_8SequenceIJLi0EEEENSS_IJLi1EEEENSS_IJLi2EEEENSS_IJLi3EEEENSS_IJLi4EEEENSS_IJLi5EEEENSS_IJLi6EEEENSS_IJLi7ELi9EEEENSS_IJLi8ELi10EEEENSS_IJLi11EEEENSS_IJLi12EEEENSS_IJLi14EEEENSS_IJLi13EEEEEEENS5_IJNSS_IJLi1ELi2ELi3EEEESX_SY_SZ_NSS_IJLi7EEEENSS_IJLi8ELi9EEEENSS_IJLi10EEEES12_S13_S15_S14_NSS_IJLi15ELi16EEEENSS_IJLi17EEEEEEENSS_IJLi15ELi17ELi16EEEElEENSB_INS5_IJSQ_SO_SO_SQ_SG_EEENS5_IJST_SU_SV_SX_SW_EEENS5_IJNSS_IJLi1ELi2EEEESW_SX_NSS_IJLi5ELi6EEEES18_EEENSS_IJLi5ELi7ELi6EEEElEENSB_INS5_IJSK_SO_SO_EEENS5_IJST_SU_SV_EEENS5_IJS1I_SW_SX_EEENSS_IJLi3ELi4EEEElEELi128ELi128ELi16ELi1ELi4ELi4ELi1ENSS_IJLi8ELi2EEEES1S_NSS_IJLi8ELi1ELi1ELi1EEEENSS_IJLi2ELi1ELi128ELi1EEEENSS_IJLi1ELi2ELi0ELi3EEEES1V_NSS_IJLi4ELi1ELi1ELi1EEEES1V_NSS_IJLi1ELi1ELi1ELi1EEEES1T_S1U_S1V_S1V_S1W_S1V_S1X_NSS_IJLi0ELi1ELi2ELi3ELi4ELi5EEEELi5ELi4EEEfNS5_IJPKfEEEfS8_S8_S9_NSB_INS5_IJSE_SG_SI_SG_SG_SK_SG_SM_SM_SO_SO_SQ_SG_SG_NSP_INS5_IJiNS_17integral_constantIiLi128EEEEEELb0EEENSF_INS23_IiLi1EEEEEEEENS5_IJST_SU_SV_SW_SX_SY_SZ_S10_S11_S12_S13_S14_S15_NSS_IJLi15EEEES1C_NSS_IJLi16EEEEEEENS5_IJS17_SX_SY_SZ_S18_S19_S1A_S12_S13_S15_S14_S1B_S1C_NSS_IJLi18EEEENSS_IJLi19ELi20EEEENSS_IJLi21EEEEEEENSS_IJLi18ELi19ELi20ELi21EEEElEENSB_INS5_IJSQ_SO_SO_SQ_SG_SG_S26_S28_EEENS5_IJST_SU_SV_SX_SW_SY_S18_SZ_EEENS5_IJS1I_SW_SX_S1J_S18_NSS_IJLi8EEEENSS_IJLi9ELi10EEEES12_EEENSS_IJLi8ELi9ELi10ELi11EEEElEENS5_IJNSB_INS5_IJSK_SO_SO_NSP_INS5_IJiNS23_IiLi2EEENS23_IiLi64EEEEEELb0EEES2T_EEENS5_IJST_SU_SV_SW_SX_EEENS5_IJS1I_SW_SX_NSS_IJLi5ELi6ELi7EEEENSS_IJLi8ELi9ELi10EEEEEEENSS_IJLi5ELi6ELi7ELi8ELi9ELi10EEEElEEEEES30_NS_31BlockToCTileMap_M00_N00_M01_N01ILi128ELi128ES1R_Lb0EEENS1_30ComputePtrOffsetOfStridedBatchILi1ELi1ELi1EvEELb1ELb0EEEvPKT0_S38_T1_PT2_T3_T4_T5_iT6_T7_T8_T9_T10_T11_
	.p2align	8
	.type	_ZN2ck16tensor_operation6device12_GLOBAL__N_137kernel_grouped_conv_fwd_dl_multiple_dINS_32GridwiseGemmDlMultipleD_km_kn_mnILi256EffNS_5TupleIJfEEEfNS0_12element_wise11PassThroughES8_NS7_7AddReluELNS_25InMemoryDataOperationEnumE0ENS_16TensorDescriptorINS5_IJNS_5EmbedINS5_IJiiiEEESD_Lb0EEENS_11PassThroughIiEENS_3PadIiiiLb0EEESG_SG_NSC_INS5_IJiiEEESJ_Lb0EEESG_NS_23Merge_v2_magic_divisionISJ_EESM_NS_8RightPadIiiLb0EEESO_NS_7UnMergeISJ_Lb0EEESG_EEENS5_IJNS_8SequenceIJLi0EEEENSS_IJLi1EEEENSS_IJLi2EEEENSS_IJLi3EEEENSS_IJLi4EEEENSS_IJLi5EEEENSS_IJLi6EEEENSS_IJLi7ELi9EEEENSS_IJLi8ELi10EEEENSS_IJLi11EEEENSS_IJLi12EEEENSS_IJLi14EEEENSS_IJLi13EEEEEEENS5_IJNSS_IJLi1ELi2ELi3EEEESX_SY_SZ_NSS_IJLi7EEEENSS_IJLi8ELi9EEEENSS_IJLi10EEEES12_S13_S15_S14_NSS_IJLi15ELi16EEEENSS_IJLi17EEEEEEENSS_IJLi15ELi17ELi16EEEElEENSB_INS5_IJSQ_SO_SO_SQ_SG_EEENS5_IJST_SU_SV_SX_SW_EEENS5_IJNSS_IJLi1ELi2EEEESW_SX_NSS_IJLi5ELi6EEEES18_EEENSS_IJLi5ELi7ELi6EEEElEENSB_INS5_IJSK_SO_SO_EEENS5_IJST_SU_SV_EEENS5_IJS1I_SW_SX_EEENSS_IJLi3ELi4EEEElEELi128ELi128ELi16ELi1ELi4ELi4ELi1ENSS_IJLi8ELi2EEEES1S_NSS_IJLi8ELi1ELi1ELi1EEEENSS_IJLi2ELi1ELi128ELi1EEEENSS_IJLi1ELi2ELi0ELi3EEEES1V_NSS_IJLi4ELi1ELi1ELi1EEEES1V_NSS_IJLi1ELi1ELi1ELi1EEEES1T_S1U_S1V_S1V_S1W_S1V_S1X_NSS_IJLi0ELi1ELi2ELi3ELi4ELi5EEEELi5ELi4EEEfNS5_IJPKfEEEfS8_S8_S9_NSB_INS5_IJSE_SG_SI_SG_SG_SK_SG_SM_SM_SO_SO_SQ_SG_SG_NSP_INS5_IJiNS_17integral_constantIiLi128EEEEEELb0EEENSF_INS23_IiLi1EEEEEEEENS5_IJST_SU_SV_SW_SX_SY_SZ_S10_S11_S12_S13_S14_S15_NSS_IJLi15EEEES1C_NSS_IJLi16EEEEEEENS5_IJS17_SX_SY_SZ_S18_S19_S1A_S12_S13_S15_S14_S1B_S1C_NSS_IJLi18EEEENSS_IJLi19ELi20EEEENSS_IJLi21EEEEEEENSS_IJLi18ELi19ELi20ELi21EEEElEENSB_INS5_IJSQ_SO_SO_SQ_SG_SG_S26_S28_EEENS5_IJST_SU_SV_SX_SW_SY_S18_SZ_EEENS5_IJS1I_SW_SX_S1J_S18_NSS_IJLi8EEEENSS_IJLi9ELi10EEEES12_EEENSS_IJLi8ELi9ELi10ELi11EEEElEENS5_IJNSB_INS5_IJSK_SO_SO_NSP_INS5_IJiNS23_IiLi2EEENS23_IiLi64EEEEEELb0EEES2T_EEENS5_IJST_SU_SV_SW_SX_EEENS5_IJS1I_SW_SX_NSS_IJLi5ELi6ELi7EEEENSS_IJLi8ELi9ELi10EEEEEEENSS_IJLi5ELi6ELi7ELi8ELi9ELi10EEEElEEEEES30_NS_31BlockToCTileMap_M00_N00_M01_N01ILi128ELi128ES1R_Lb0EEENS1_30ComputePtrOffsetOfStridedBatchILi1ELi1ELi1EvEELb1ELb0EEEvPKT0_S38_T1_PT2_T3_T4_T5_iT6_T7_T8_T9_T10_T11_,@function
_ZN2ck16tensor_operation6device12_GLOBAL__N_137kernel_grouped_conv_fwd_dl_multiple_dINS_32GridwiseGemmDlMultipleD_km_kn_mnILi256EffNS_5TupleIJfEEEfNS0_12element_wise11PassThroughES8_NS7_7AddReluELNS_25InMemoryDataOperationEnumE0ENS_16TensorDescriptorINS5_IJNS_5EmbedINS5_IJiiiEEESD_Lb0EEENS_11PassThroughIiEENS_3PadIiiiLb0EEESG_SG_NSC_INS5_IJiiEEESJ_Lb0EEESG_NS_23Merge_v2_magic_divisionISJ_EESM_NS_8RightPadIiiLb0EEESO_NS_7UnMergeISJ_Lb0EEESG_EEENS5_IJNS_8SequenceIJLi0EEEENSS_IJLi1EEEENSS_IJLi2EEEENSS_IJLi3EEEENSS_IJLi4EEEENSS_IJLi5EEEENSS_IJLi6EEEENSS_IJLi7ELi9EEEENSS_IJLi8ELi10EEEENSS_IJLi11EEEENSS_IJLi12EEEENSS_IJLi14EEEENSS_IJLi13EEEEEEENS5_IJNSS_IJLi1ELi2ELi3EEEESX_SY_SZ_NSS_IJLi7EEEENSS_IJLi8ELi9EEEENSS_IJLi10EEEES12_S13_S15_S14_NSS_IJLi15ELi16EEEENSS_IJLi17EEEEEEENSS_IJLi15ELi17ELi16EEEElEENSB_INS5_IJSQ_SO_SO_SQ_SG_EEENS5_IJST_SU_SV_SX_SW_EEENS5_IJNSS_IJLi1ELi2EEEESW_SX_NSS_IJLi5ELi6EEEES18_EEENSS_IJLi5ELi7ELi6EEEElEENSB_INS5_IJSK_SO_SO_EEENS5_IJST_SU_SV_EEENS5_IJS1I_SW_SX_EEENSS_IJLi3ELi4EEEElEELi128ELi128ELi16ELi1ELi4ELi4ELi1ENSS_IJLi8ELi2EEEES1S_NSS_IJLi8ELi1ELi1ELi1EEEENSS_IJLi2ELi1ELi128ELi1EEEENSS_IJLi1ELi2ELi0ELi3EEEES1V_NSS_IJLi4ELi1ELi1ELi1EEEES1V_NSS_IJLi1ELi1ELi1ELi1EEEES1T_S1U_S1V_S1V_S1W_S1V_S1X_NSS_IJLi0ELi1ELi2ELi3ELi4ELi5EEEELi5ELi4EEEfNS5_IJPKfEEEfS8_S8_S9_NSB_INS5_IJSE_SG_SI_SG_SG_SK_SG_SM_SM_SO_SO_SQ_SG_SG_NSP_INS5_IJiNS_17integral_constantIiLi128EEEEEELb0EEENSF_INS23_IiLi1EEEEEEEENS5_IJST_SU_SV_SW_SX_SY_SZ_S10_S11_S12_S13_S14_S15_NSS_IJLi15EEEES1C_NSS_IJLi16EEEEEEENS5_IJS17_SX_SY_SZ_S18_S19_S1A_S12_S13_S15_S14_S1B_S1C_NSS_IJLi18EEEENSS_IJLi19ELi20EEEENSS_IJLi21EEEEEEENSS_IJLi18ELi19ELi20ELi21EEEElEENSB_INS5_IJSQ_SO_SO_SQ_SG_SG_S26_S28_EEENS5_IJST_SU_SV_SX_SW_SY_S18_SZ_EEENS5_IJS1I_SW_SX_S1J_S18_NSS_IJLi8EEEENSS_IJLi9ELi10EEEES12_EEENSS_IJLi8ELi9ELi10ELi11EEEElEENS5_IJNSB_INS5_IJSK_SO_SO_NSP_INS5_IJiNS23_IiLi2EEENS23_IiLi64EEEEEELb0EEES2T_EEENS5_IJST_SU_SV_SW_SX_EEENS5_IJS1I_SW_SX_NSS_IJLi5ELi6ELi7EEEENSS_IJLi8ELi9ELi10EEEEEEENSS_IJLi5ELi6ELi7ELi8ELi9ELi10EEEElEEEEES30_NS_31BlockToCTileMap_M00_N00_M01_N01ILi128ELi128ES1R_Lb0EEENS1_30ComputePtrOffsetOfStridedBatchILi1ELi1ELi1EvEELb1ELb0EEEvPKT0_S38_T1_PT2_T3_T4_T5_iT6_T7_T8_T9_T10_T11_: ; @_ZN2ck16tensor_operation6device12_GLOBAL__N_137kernel_grouped_conv_fwd_dl_multiple_dINS_32GridwiseGemmDlMultipleD_km_kn_mnILi256EffNS_5TupleIJfEEEfNS0_12element_wise11PassThroughES8_NS7_7AddReluELNS_25InMemoryDataOperationEnumE0ENS_16TensorDescriptorINS5_IJNS_5EmbedINS5_IJiiiEEESD_Lb0EEENS_11PassThroughIiEENS_3PadIiiiLb0EEESG_SG_NSC_INS5_IJiiEEESJ_Lb0EEESG_NS_23Merge_v2_magic_divisionISJ_EESM_NS_8RightPadIiiLb0EEESO_NS_7UnMergeISJ_Lb0EEESG_EEENS5_IJNS_8SequenceIJLi0EEEENSS_IJLi1EEEENSS_IJLi2EEEENSS_IJLi3EEEENSS_IJLi4EEEENSS_IJLi5EEEENSS_IJLi6EEEENSS_IJLi7ELi9EEEENSS_IJLi8ELi10EEEENSS_IJLi11EEEENSS_IJLi12EEEENSS_IJLi14EEEENSS_IJLi13EEEEEEENS5_IJNSS_IJLi1ELi2ELi3EEEESX_SY_SZ_NSS_IJLi7EEEENSS_IJLi8ELi9EEEENSS_IJLi10EEEES12_S13_S15_S14_NSS_IJLi15ELi16EEEENSS_IJLi17EEEEEEENSS_IJLi15ELi17ELi16EEEElEENSB_INS5_IJSQ_SO_SO_SQ_SG_EEENS5_IJST_SU_SV_SX_SW_EEENS5_IJNSS_IJLi1ELi2EEEESW_SX_NSS_IJLi5ELi6EEEES18_EEENSS_IJLi5ELi7ELi6EEEElEENSB_INS5_IJSK_SO_SO_EEENS5_IJST_SU_SV_EEENS5_IJS1I_SW_SX_EEENSS_IJLi3ELi4EEEElEELi128ELi128ELi16ELi1ELi4ELi4ELi1ENSS_IJLi8ELi2EEEES1S_NSS_IJLi8ELi1ELi1ELi1EEEENSS_IJLi2ELi1ELi128ELi1EEEENSS_IJLi1ELi2ELi0ELi3EEEES1V_NSS_IJLi4ELi1ELi1ELi1EEEES1V_NSS_IJLi1ELi1ELi1ELi1EEEES1T_S1U_S1V_S1V_S1W_S1V_S1X_NSS_IJLi0ELi1ELi2ELi3ELi4ELi5EEEELi5ELi4EEEfNS5_IJPKfEEEfS8_S8_S9_NSB_INS5_IJSE_SG_SI_SG_SG_SK_SG_SM_SM_SO_SO_SQ_SG_SG_NSP_INS5_IJiNS_17integral_constantIiLi128EEEEEELb0EEENSF_INS23_IiLi1EEEEEEEENS5_IJST_SU_SV_SW_SX_SY_SZ_S10_S11_S12_S13_S14_S15_NSS_IJLi15EEEES1C_NSS_IJLi16EEEEEEENS5_IJS17_SX_SY_SZ_S18_S19_S1A_S12_S13_S15_S14_S1B_S1C_NSS_IJLi18EEEENSS_IJLi19ELi20EEEENSS_IJLi21EEEEEEENSS_IJLi18ELi19ELi20ELi21EEEElEENSB_INS5_IJSQ_SO_SO_SQ_SG_SG_S26_S28_EEENS5_IJST_SU_SV_SX_SW_SY_S18_SZ_EEENS5_IJS1I_SW_SX_S1J_S18_NSS_IJLi8EEEENSS_IJLi9ELi10EEEES12_EEENSS_IJLi8ELi9ELi10ELi11EEEElEENS5_IJNSB_INS5_IJSK_SO_SO_NSP_INS5_IJiNS23_IiLi2EEENS23_IiLi64EEEEEELb0EEES2T_EEENS5_IJST_SU_SV_SW_SX_EEENS5_IJS1I_SW_SX_NSS_IJLi5ELi6ELi7EEEENSS_IJLi8ELi9ELi10EEEEEEENSS_IJLi5ELi6ELi7ELi8ELi9ELi10EEEElEEEEES30_NS_31BlockToCTileMap_M00_N00_M01_N01ILi128ELi128ES1R_Lb0EEENS1_30ComputePtrOffsetOfStridedBatchILi1ELi1ELi1EvEELb1ELb0EEEvPKT0_S38_T1_PT2_T3_T4_T5_iT6_T7_T8_T9_T10_T11_
; %bb.0:
	s_clause 0x5
	s_load_b256 s[52:59], s[0:1], 0xc8
	s_load_b256 s[60:67], s[0:1], 0xa8
	s_load_b256 s[68:75], s[0:1], 0x88
	s_load_b256 s[44:51], s[0:1], 0x68
	s_load_b32 s13, s[0:1], 0x24
	s_load_b256 s[36:43], s[0:1], 0x48
	s_mov_b32 s12, s15
	s_clause 0x3
	s_load_b256 s[4:11], s[0:1], 0x0
	s_load_b256 s[16:23], s[0:1], 0x28
	s_load_b64 s[14:15], s[0:1], 0xe8
	s_load_b256 s[24:31], s[0:1], 0xf0
	s_mov_b64 s[2:3], src_private_base
	s_movk_i32 s32, 0x240
	s_waitcnt lgkmcnt(0)
	v_dual_mov_b32 v1, s56 :: v_dual_mov_b32 v2, s57
	v_dual_mov_b32 v3, s58 :: v_dual_mov_b32 v4, s59
	s_abs_i32 s2, s13
	v_dual_mov_b32 v5, s52 :: v_dual_mov_b32 v6, s53
	v_cvt_f32_u32_e32 v33, s2
	v_dual_mov_b32 v7, s54 :: v_dual_mov_b32 v8, s55
	v_dual_mov_b32 v9, s64 :: v_dual_mov_b32 v10, s65
	;; [unrolled: 1-line block ×5, first 2 shown]
	s_clause 0x3
	scratch_store_b128 off, v[1:4], off offset:176
	scratch_store_b128 off, v[5:8], off offset:160
	;; [unrolled: 1-line block ×4, first 2 shown]
	v_rcp_iflag_f32_e32 v11, v33
	v_dual_mov_b32 v17, s72 :: v_dual_mov_b32 v18, s73
	v_dual_mov_b32 v19, s74 :: v_dual_mov_b32 v20, s75
	;; [unrolled: 1-line block ×12, first 2 shown]
	s_clause 0x5
	scratch_store_b128 off, v[17:20], off offset:112
	scratch_store_b128 off, v[21:24], off offset:96
	;; [unrolled: 1-line block ×6, first 2 shown]
	v_dual_mov_b32 v1, s20 :: v_dual_mov_b32 v2, s21
	v_dual_mov_b32 v3, s22 :: v_dual_mov_b32 v4, s23
	;; [unrolled: 1-line block ×4, first 2 shown]
	s_load_b32 s14, s[0:1], 0x288
	v_dual_mov_b32 v7, s18 :: v_dual_mov_b32 v8, s19
	v_mul_f32_e32 v11, 0x4f7ffffe, v11
	s_clause 0x2
	scratch_store_b128 off, v[1:4], off offset:16
	scratch_store_b128 off, v[5:8], off
	scratch_store_b64 off, v[9:10], off offset:192
	v_dual_mov_b32 v1, s24 :: v_dual_mov_b32 v4, s27
	v_mov_b32_e32 v2, s25
	v_cvt_u32_f32_e32 v17, v11
	s_load_b256 s[40:47], s[0:1], 0x110
	s_sub_i32 s16, 0, s2
	v_dual_mov_b32 v5, s28 :: v_dual_mov_b32 v8, s31
	s_delay_alu instid0(VALU_DEP_2) | instskip(SKIP_3) | instid1(VALU_DEP_3)
	v_readfirstlane_b32 s15, v17
	v_dual_mov_b32 v3, s26 :: v_dual_mov_b32 v6, s29
	v_mov_b32_e32 v7, s30
	s_load_b256 s[24:31], s[0:1], 0x130
	s_mul_i32 s33, s16, s15
	s_waitcnt lgkmcnt(0)
	s_abs_i32 s34, s14
	s_mul_hi_u32 s33, s15, s33
	s_xor_b32 s13, s14, s13
	s_add_i32 s15, s15, s33
	s_load_b256 s[16:23], s[0:1], 0x190
	s_mul_hi_u32 s15, s34, s15
	s_ashr_i32 s13, s13, 31
	s_mul_i32 s14, s15, s2
	s_add_i32 s33, s15, 1
	s_sub_i32 s14, s34, s14
	v_dual_mov_b32 v9, s40 :: v_dual_mov_b32 v12, s43
	s_sub_i32 s34, s14, s2
	s_cmp_ge_u32 s14, s2
	v_dual_mov_b32 v13, s44 :: v_dual_mov_b32 v16, s47
	s_cselect_b32 s15, s33, s15
	v_dual_mov_b32 v11, s42 :: v_dual_mov_b32 v14, s45
	v_mov_b32_e32 v15, s46
	s_load_b256 s[44:51], s[0:1], 0x170
	s_cselect_b32 s14, s34, s14
	v_mov_b32_e32 v10, s41
	s_load_b256 s[36:43], s[0:1], 0x150
	s_add_i32 s33, s15, 1
	s_cmp_ge_u32 s14, s2
	s_load_b256 s[52:59], s[0:1], 0x1d0
	s_cselect_b32 s2, s33, s15
	s_clause 0x1
	scratch_store_b128 off, v[1:4], off offset:200
	scratch_store_b128 off, v[5:8], off offset:216
	s_xor_b32 s2, s2, s13
	v_dual_mov_b32 v1, s24 :: v_dual_mov_b32 v4, s27
	s_sub_i32 s2, s2, s13
	v_mov_b32_e32 v2, s25
	s_abs_i32 s13, s2
	s_clause 0x1
	scratch_store_b128 off, v[9:12], off offset:232
	scratch_store_b128 off, v[13:16], off offset:248
	v_cvt_f32_u32_e32 v13, s13
	v_mov_b32_e32 v3, s26
	v_dual_mov_b32 v5, s28 :: v_dual_mov_b32 v8, s31
	s_waitcnt lgkmcnt(0)
	v_dual_mov_b32 v9, s16 :: v_dual_mov_b32 v12, s19
	v_dual_mov_b32 v6, s29 :: v_dual_mov_b32 v7, s30
	;; [unrolled: 1-line block ×3, first 2 shown]
	v_rcp_iflag_f32_e32 v21, v13
	s_clause 0x1
	scratch_store_b128 off, v[1:4], off offset:264
	scratch_store_b128 off, v[5:8], off offset:280
	v_dual_mov_b32 v1, s48 :: v_dual_mov_b32 v4, s51
	v_mov_b32_e32 v2, s49
	scratch_store_b128 off, v[9:12], off offset:360
	v_mov_b32_e32 v3, s50
	v_dual_mov_b32 v5, s44 :: v_dual_mov_b32 v8, s47
	v_dual_mov_b32 v9, s40 :: v_dual_mov_b32 v12, s43
	;; [unrolled: 1-line block ×7, first 2 shown]
	s_load_b256 s[24:31], s[0:1], 0x1b0
	v_dual_mov_b32 v18, s57 :: v_dual_mov_b32 v19, s58
	s_clause 0x1
	scratch_store_b128 off, v[1:4], off offset:344
	scratch_store_b128 off, v[5:8], off offset:328
	v_dual_mov_b32 v1, s52 :: v_dual_mov_b32 v2, s53
	s_clause 0x2
	scratch_store_b128 off, v[9:12], off offset:312
	scratch_store_b128 off, v[13:16], off offset:296
	;; [unrolled: 1-line block ×3, first 2 shown]
	v_dual_mul_f32 v17, 0x4f7ffffe, v21 :: v_dual_mov_b32 v4, s55
	s_load_b128 s[16:19], s[0:1], 0x250
	s_sub_i32 s15, 0, s13
	v_mov_b32_e32 v3, s54
	s_delay_alu instid0(VALU_DEP_2) | instskip(SKIP_3) | instid1(VALU_DEP_3)
	v_cvt_u32_f32_e32 v17, v17
	v_mov_b32_e32 v13, s20
	s_abs_i32 s33, s12
	v_dual_mov_b32 v14, s21 :: v_dual_mov_b32 v15, s22
	v_readfirstlane_b32 s14, v17
	v_mov_b32_e32 v16, s23
	s_load_b256 s[36:43], s[0:1], 0x230
	s_waitcnt lgkmcnt(0)
	v_dual_mov_b32 v5, s28 :: v_dual_mov_b32 v6, s29
	s_mul_i32 s15, s15, s14
	v_mov_b32_e32 v7, s30
	s_mul_hi_u32 s15, s14, s15
	v_dual_mov_b32 v8, s31 :: v_dual_mov_b32 v9, s24
	v_dual_mov_b32 v10, s25 :: v_dual_mov_b32 v11, s26
	v_mov_b32_e32 v12, s27
	s_add_i32 s14, s14, s15
	s_clause 0x3
	scratch_store_b128 off, v[1:4], off offset:424
	scratch_store_b128 off, v[5:8], off offset:408
	;; [unrolled: 1-line block ×4, first 2 shown]
	s_mul_hi_u32 s14, s33, s14
	v_dual_mov_b32 v1, s16 :: v_dual_mov_b32 v2, s17
	v_dual_mov_b32 v3, s18 :: v_dual_mov_b32 v4, s19
	s_clause 0x2
	s_load_b256 s[24:31], s[0:1], 0x1f0
	s_load_b256 s[44:51], s[0:1], 0x210
	;; [unrolled: 1-line block ×3, first 2 shown]
	s_mul_i32 s15, s14, s13
	s_xor_b32 s2, s12, s2
	s_sub_i32 s15, s33, s15
	s_ashr_i32 s2, s2, 31
	s_add_i32 s33, s14, 1
	s_sub_i32 s34, s15, s13
	s_cmp_ge_u32 s15, s13
	scratch_store_b128 off, v[1:4], off offset:552
	s_cselect_b32 s14, s33, s14
	s_cselect_b32 s15, s34, s15
	s_add_i32 s33, s14, 1
	s_cmp_ge_u32 s15, s13
	s_mov_b32 s15, 0
	s_cselect_b32 s13, s33, s14
	v_mov_b32_e32 v1, s40
	s_xor_b32 s13, s13, s2
	v_mov_b32_e32 v2, s41
	s_sub_i32 s2, s13, s2
	s_waitcnt lgkmcnt(0)
	v_mov_b32_e32 v9, s28
	s_ashr_i32 s13, s2, 31
	v_mov_b32_e32 v13, s24
	v_dual_mov_b32 v11, s30 :: v_dual_mov_b32 v16, s27
	v_dual_mov_b32 v14, s25 :: v_dual_mov_b32 v15, s26
	s_mul_i32 s14, s16, s13
	s_mul_hi_u32 s24, s16, s2
	s_mul_i32 s17, s17, s2
	s_add_i32 s14, s24, s14
	s_mul_i32 s24, s18, s13
	s_mul_hi_u32 s25, s18, s2
	s_add_i32 s26, s14, s17
	s_add_i32 s17, s25, s24
	s_mul_i32 s19, s19, s2
	s_mul_i32 s14, s16, s2
	s_add_i32 s24, s17, s19
	s_mul_i32 s16, s22, s13
	s_mul_i32 s13, s20, s13
	s_mul_hi_u32 s17, s20, s2
	s_mul_hi_u32 s19, s22, s2
	s_add_i32 s13, s17, s13
	s_mul_i32 s17, s21, s2
	s_add_i32 s19, s19, s16
	s_add_i32 s17, s13, s17
	s_mul_i32 s16, s20, s2
	s_mul_i32 s13, s23, s2
	s_lshl_b64 s[16:17], s[16:17], 2
	s_add_i32 s13, s19, s13
	s_add_u32 s20, s8, s16
	s_addc_u32 s21, s9, s17
	s_lshl_b32 s9, s26, 2
	s_mov_b32 s8, s15
	s_lshl_b64 s[16:17], s[14:15], 2
	s_mul_i32 s18, s18, s2
	s_or_b64 s[8:9], s[8:9], s[16:17]
	s_mov_b32 s19, s15
	s_add_u32 s14, s4, s8
	s_addc_u32 s23, s5, s9
	s_lshl_b32 s5, s24, 2
	s_mov_b32 s4, s15
	s_lshl_b64 s[8:9], s[18:19], 2
	v_dual_mov_b32 v3, s42 :: v_dual_mov_b32 v4, s43
	v_dual_mov_b32 v5, s36 :: v_dual_mov_b32 v6, s37
	;; [unrolled: 1-line block ×3, first 2 shown]
	s_or_b64 s[4:5], s[4:5], s[8:9]
	s_mul_i32 s16, s22, s2
	s_mov_b32 s17, s15
	s_add_u32 s2, s6, s4
	s_addc_u32 s18, s7, s5
	s_lshl_b32 s5, s13, 2
	s_mov_b32 s4, s15
	s_lshl_b64 s[6:7], s[16:17], 2
	s_clause 0x1
	scratch_store_b128 off, v[1:4], off offset:536
	scratch_store_b128 off, v[5:8], off offset:520
	v_mov_b32_e32 v1, s48
	v_dual_mov_b32 v5, s44 :: v_dual_mov_b32 v10, s29
	v_dual_mov_b32 v2, s49 :: v_dual_mov_b32 v3, s50
	v_mov_b32_e32 v8, s47
	v_dual_mov_b32 v4, s51 :: v_dual_mov_b32 v7, s46
	v_mov_b32_e32 v12, s31
	s_or_b64 s[4:5], s[4:5], s[6:7]
	v_mov_b32_e32 v6, s45
	s_add_u32 s4, s10, s4
	s_addc_u32 s5, s11, s5
	s_clause 0x1
	scratch_store_b128 off, v[1:4], off offset:504
	scratch_store_b128 off, v[5:8], off offset:488
	v_dual_mov_b32 v31, v0 :: v_dual_mov_b32 v4, s20
	v_dual_mov_b32 v0, s14 :: v_dual_mov_b32 v1, s23
	v_mov_b32_e32 v6, s4
	v_mov_b32_e32 v2, s2
	s_clause 0x1
	scratch_store_b128 off, v[9:12], off offset:472
	scratch_store_b128 off, v[13:16], off offset:456
	v_dual_mov_b32 v3, s18 :: v_dual_mov_b32 v8, 0
	v_dual_mov_b32 v5, s21 :: v_dual_mov_b32 v10, 0xc8
	;; [unrolled: 1-line block ×5, first 2 shown]
	v_mov_b32_e32 v13, s3
	v_mov_b32_e32 v15, s3
	;; [unrolled: 1-line block ×3, first 2 shown]
	s_add_u32 s8, s0, 0x288
	s_addc_u32 s9, s1, 0
	s_getpc_b64 s[0:1]
	s_add_u32 s0, s0, _ZN2ck32GridwiseGemmDlMultipleD_km_kn_mnILi256EffNS_5TupleIJfEEEfNS_16tensor_operation12element_wise11PassThroughES5_NS4_7AddReluELNS_25InMemoryDataOperationEnumE0ENS_16TensorDescriptorINS1_IJNS_5EmbedINS1_IJiiiEEESA_Lb0EEENS_11PassThroughIiEENS_3PadIiiiLb0EEESD_SD_NS9_INS1_IJiiEEESG_Lb0EEESD_NS_23Merge_v2_magic_divisionISG_EESJ_NS_8RightPadIiiLb0EEESL_NS_7UnMergeISG_Lb0EEESD_EEENS1_IJNS_8SequenceIJLi0EEEENSP_IJLi1EEEENSP_IJLi2EEEENSP_IJLi3EEEENSP_IJLi4EEEENSP_IJLi5EEEENSP_IJLi6EEEENSP_IJLi7ELi9EEEENSP_IJLi8ELi10EEEENSP_IJLi11EEEENSP_IJLi12EEEENSP_IJLi14EEEENSP_IJLi13EEEEEEENS1_IJNSP_IJLi1ELi2ELi3EEEESU_SV_SW_NSP_IJLi7EEEENSP_IJLi8ELi9EEEENSP_IJLi10EEEESZ_S10_S12_S11_NSP_IJLi15ELi16EEEENSP_IJLi17EEEEEEENSP_IJLi15ELi17ELi16EEEElEENS8_INS1_IJSN_SL_SL_SN_SD_EEENS1_IJSQ_SR_SS_SU_ST_EEENS1_IJNSP_IJLi1ELi2EEEEST_SU_NSP_IJLi5ELi6EEEES15_EEENSP_IJLi5ELi7ELi6EEEElEENS8_INS1_IJSH_SL_SL_EEENS1_IJSQ_SR_SS_EEENS1_IJS1F_ST_SU_EEENSP_IJLi3ELi4EEEElEELi128ELi128ELi16ELi1ELi4ELi4ELi1ENSP_IJLi8ELi2EEEES1P_NSP_IJLi8ELi1ELi1ELi1EEEENSP_IJLi2ELi1ELi128ELi1EEEENSP_IJLi1ELi2ELi0ELi3EEEES1S_NSP_IJLi4ELi1ELi1ELi1EEEES1S_NSP_IJLi1ELi1ELi1ELi1EEEES1Q_S1R_S1S_S1S_S1T_S1S_S1U_NSP_IJLi0ELi1ELi2ELi3ELi4ELi5EEEELi5ELi4EE3RunINS1_IJNS8_INS1_IJSH_SL_SL_NSM_INS1_IJiNS_17integral_constantIiLi2EEENS1Y_IiLi64EEEEEELb0EEES22_EEENS1_IJSQ_SR_SS_ST_SU_EEENS1_IJS1F_ST_SU_NSP_IJLi5ELi6ELi7EEEENSP_IJLi8ELi9ELi10EEEEEEENSP_IJLi5ELi6ELi7ELi8ELi9ELi10EEEElEEEEELb1ELb0ENS_31BlockToCTileMap_M00_N00_M01_N01ILi128ELi128ES1O_Lb0EEEEEvPKfS2E_NS1_IJS2E_EEEPfPvRKS5_S2J_RKS6_RKNS8_INS1_IJSB_SD_SF_SD_SD_SH_SD_SJ_SJ_SL_SL_SN_SD_SD_NSM_INS1_IJiNS1Y_IiLi128EEEEEELb0EEENSC_INS1Y_IiLi1EEEEEEEENS1_IJSQ_SR_SS_ST_SU_SV_SW_SX_SY_SZ_S10_S11_S12_NSP_IJLi15EEEES19_NSP_IJLi16EEEEEEENS1_IJS14_SU_SV_SW_S15_S16_S17_SZ_S10_S12_S11_S18_S19_NSP_IJLi18EEEENSP_IJLi19ELi20EEEENSP_IJLi21EEEEEEENSP_IJLi18ELi19ELi20ELi21EEEElEERKNS8_INS1_IJSN_SL_SL_SN_SD_SD_S2O_S2Q_EEENS1_IJSQ_SR_SS_SU_ST_SV_S15_SW_EEENS1_IJS1F_ST_SU_S1G_S15_NSP_IJLi8EEEENSP_IJLi9ELi10EEEESZ_EEENSP_IJLi8ELi9ELi10ELi11EEEElEERKT_RKS29_RKT2_NS1Y_IbXT0_EEENS1Y_IbXT1_EEE@rel32@lo+4
	s_addc_u32 s1, s1, _ZN2ck32GridwiseGemmDlMultipleD_km_kn_mnILi256EffNS_5TupleIJfEEEfNS_16tensor_operation12element_wise11PassThroughES5_NS4_7AddReluELNS_25InMemoryDataOperationEnumE0ENS_16TensorDescriptorINS1_IJNS_5EmbedINS1_IJiiiEEESA_Lb0EEENS_11PassThroughIiEENS_3PadIiiiLb0EEESD_SD_NS9_INS1_IJiiEEESG_Lb0EEESD_NS_23Merge_v2_magic_divisionISG_EESJ_NS_8RightPadIiiLb0EEESL_NS_7UnMergeISG_Lb0EEESD_EEENS1_IJNS_8SequenceIJLi0EEEENSP_IJLi1EEEENSP_IJLi2EEEENSP_IJLi3EEEENSP_IJLi4EEEENSP_IJLi5EEEENSP_IJLi6EEEENSP_IJLi7ELi9EEEENSP_IJLi8ELi10EEEENSP_IJLi11EEEENSP_IJLi12EEEENSP_IJLi14EEEENSP_IJLi13EEEEEEENS1_IJNSP_IJLi1ELi2ELi3EEEESU_SV_SW_NSP_IJLi7EEEENSP_IJLi8ELi9EEEENSP_IJLi10EEEESZ_S10_S12_S11_NSP_IJLi15ELi16EEEENSP_IJLi17EEEEEEENSP_IJLi15ELi17ELi16EEEElEENS8_INS1_IJSN_SL_SL_SN_SD_EEENS1_IJSQ_SR_SS_SU_ST_EEENS1_IJNSP_IJLi1ELi2EEEEST_SU_NSP_IJLi5ELi6EEEES15_EEENSP_IJLi5ELi7ELi6EEEElEENS8_INS1_IJSH_SL_SL_EEENS1_IJSQ_SR_SS_EEENS1_IJS1F_ST_SU_EEENSP_IJLi3ELi4EEEElEELi128ELi128ELi16ELi1ELi4ELi4ELi1ENSP_IJLi8ELi2EEEES1P_NSP_IJLi8ELi1ELi1ELi1EEEENSP_IJLi2ELi1ELi128ELi1EEEENSP_IJLi1ELi2ELi0ELi3EEEES1S_NSP_IJLi4ELi1ELi1ELi1EEEES1S_NSP_IJLi1ELi1ELi1ELi1EEEES1Q_S1R_S1S_S1S_S1T_S1S_S1U_NSP_IJLi0ELi1ELi2ELi3ELi4ELi5EEEELi5ELi4EE3RunINS1_IJNS8_INS1_IJSH_SL_SL_NSM_INS1_IJiNS_17integral_constantIiLi2EEENS1Y_IiLi64EEEEEELb0EEES22_EEENS1_IJSQ_SR_SS_ST_SU_EEENS1_IJS1F_ST_SU_NSP_IJLi5ELi6ELi7EEEENSP_IJLi8ELi9ELi10EEEEEEENSP_IJLi5ELi6ELi7ELi8ELi9ELi10EEEElEEEEELb1ELb0ENS_31BlockToCTileMap_M00_N00_M01_N01ILi128ELi128ES1O_Lb0EEEEEvPKfS2E_NS1_IJS2E_EEEPfPvRKS5_S2J_RKS6_RKNS8_INS1_IJSB_SD_SF_SD_SD_SH_SD_SJ_SJ_SL_SL_SN_SD_SD_NSM_INS1_IJiNS1Y_IiLi128EEEEEELb0EEENSC_INS1Y_IiLi1EEEEEEEENS1_IJSQ_SR_SS_ST_SU_SV_SW_SX_SY_SZ_S10_S11_S12_NSP_IJLi15EEEES19_NSP_IJLi16EEEEEEENS1_IJS14_SU_SV_SW_S15_S16_S17_SZ_S10_S12_S11_S18_S19_NSP_IJLi18EEEENSP_IJLi19ELi20EEEENSP_IJLi21EEEEEEENSP_IJLi18ELi19ELi20ELi21EEEElEERKNS8_INS1_IJSN_SL_SL_SN_SD_SD_S2O_S2Q_EEENS1_IJSQ_SR_SS_SU_ST_SV_S15_SW_EEENS1_IJS1F_ST_SU_S1G_S15_NSP_IJLi8EEEENSP_IJLi9ELi10EEEESZ_EEENSP_IJLi8ELi9ELi10ELi11EEEElEERKT_RKS29_RKT2_NS1Y_IbXT0_EEENS1Y_IbXT1_EEE@rel32@hi+12
	s_delay_alu instid0(SALU_CYCLE_1)
	s_swappc_b64 s[30:31], s[0:1]
	s_endpgm
	.section	.rodata,"a",@progbits
	.p2align	6, 0x0
	.amdhsa_kernel _ZN2ck16tensor_operation6device12_GLOBAL__N_137kernel_grouped_conv_fwd_dl_multiple_dINS_32GridwiseGemmDlMultipleD_km_kn_mnILi256EffNS_5TupleIJfEEEfNS0_12element_wise11PassThroughES8_NS7_7AddReluELNS_25InMemoryDataOperationEnumE0ENS_16TensorDescriptorINS5_IJNS_5EmbedINS5_IJiiiEEESD_Lb0EEENS_11PassThroughIiEENS_3PadIiiiLb0EEESG_SG_NSC_INS5_IJiiEEESJ_Lb0EEESG_NS_23Merge_v2_magic_divisionISJ_EESM_NS_8RightPadIiiLb0EEESO_NS_7UnMergeISJ_Lb0EEESG_EEENS5_IJNS_8SequenceIJLi0EEEENSS_IJLi1EEEENSS_IJLi2EEEENSS_IJLi3EEEENSS_IJLi4EEEENSS_IJLi5EEEENSS_IJLi6EEEENSS_IJLi7ELi9EEEENSS_IJLi8ELi10EEEENSS_IJLi11EEEENSS_IJLi12EEEENSS_IJLi14EEEENSS_IJLi13EEEEEEENS5_IJNSS_IJLi1ELi2ELi3EEEESX_SY_SZ_NSS_IJLi7EEEENSS_IJLi8ELi9EEEENSS_IJLi10EEEES12_S13_S15_S14_NSS_IJLi15ELi16EEEENSS_IJLi17EEEEEEENSS_IJLi15ELi17ELi16EEEElEENSB_INS5_IJSQ_SO_SO_SQ_SG_EEENS5_IJST_SU_SV_SX_SW_EEENS5_IJNSS_IJLi1ELi2EEEESW_SX_NSS_IJLi5ELi6EEEES18_EEENSS_IJLi5ELi7ELi6EEEElEENSB_INS5_IJSK_SO_SO_EEENS5_IJST_SU_SV_EEENS5_IJS1I_SW_SX_EEENSS_IJLi3ELi4EEEElEELi128ELi128ELi16ELi1ELi4ELi4ELi1ENSS_IJLi8ELi2EEEES1S_NSS_IJLi8ELi1ELi1ELi1EEEENSS_IJLi2ELi1ELi128ELi1EEEENSS_IJLi1ELi2ELi0ELi3EEEES1V_NSS_IJLi4ELi1ELi1ELi1EEEES1V_NSS_IJLi1ELi1ELi1ELi1EEEES1T_S1U_S1V_S1V_S1W_S1V_S1X_NSS_IJLi0ELi1ELi2ELi3ELi4ELi5EEEELi5ELi4EEEfNS5_IJPKfEEEfS8_S8_S9_NSB_INS5_IJSE_SG_SI_SG_SG_SK_SG_SM_SM_SO_SO_SQ_SG_SG_NSP_INS5_IJiNS_17integral_constantIiLi128EEEEEELb0EEENSF_INS23_IiLi1EEEEEEEENS5_IJST_SU_SV_SW_SX_SY_SZ_S10_S11_S12_S13_S14_S15_NSS_IJLi15EEEES1C_NSS_IJLi16EEEEEEENS5_IJS17_SX_SY_SZ_S18_S19_S1A_S12_S13_S15_S14_S1B_S1C_NSS_IJLi18EEEENSS_IJLi19ELi20EEEENSS_IJLi21EEEEEEENSS_IJLi18ELi19ELi20ELi21EEEElEENSB_INS5_IJSQ_SO_SO_SQ_SG_SG_S26_S28_EEENS5_IJST_SU_SV_SX_SW_SY_S18_SZ_EEENS5_IJS1I_SW_SX_S1J_S18_NSS_IJLi8EEEENSS_IJLi9ELi10EEEES12_EEENSS_IJLi8ELi9ELi10ELi11EEEElEENS5_IJNSB_INS5_IJSK_SO_SO_NSP_INS5_IJiNS23_IiLi2EEENS23_IiLi64EEEEEELb0EEES2T_EEENS5_IJST_SU_SV_SW_SX_EEENS5_IJS1I_SW_SX_NSS_IJLi5ELi6ELi7EEEENSS_IJLi8ELi9ELi10EEEEEEENSS_IJLi5ELi6ELi7ELi8ELi9ELi10EEEElEEEEES30_NS_31BlockToCTileMap_M00_N00_M01_N01ILi128ELi128ES1R_Lb0EEENS1_30ComputePtrOffsetOfStridedBatchILi1ELi1ELi1EvEELb1ELb0EEEvPKT0_S38_T1_PT2_T3_T4_T5_iT6_T7_T8_T9_T10_T11_
		.amdhsa_group_segment_fixed_size 32768
		.amdhsa_private_segment_fixed_size 576
		.amdhsa_kernarg_size 904
		.amdhsa_user_sgpr_count 15
		.amdhsa_user_sgpr_dispatch_ptr 0
		.amdhsa_user_sgpr_queue_ptr 0
		.amdhsa_user_sgpr_kernarg_segment_ptr 1
		.amdhsa_user_sgpr_dispatch_id 0
		.amdhsa_user_sgpr_private_segment_size 0
		.amdhsa_wavefront_size32 1
		.amdhsa_uses_dynamic_stack 0
		.amdhsa_enable_private_segment 1
		.amdhsa_system_sgpr_workgroup_id_x 1
		.amdhsa_system_sgpr_workgroup_id_y 0
		.amdhsa_system_sgpr_workgroup_id_z 0
		.amdhsa_system_sgpr_workgroup_info 0
		.amdhsa_system_vgpr_workitem_id 0
		.amdhsa_next_free_vgpr 242
		.amdhsa_next_free_sgpr 76
		.amdhsa_reserve_vcc 1
		.amdhsa_float_round_mode_32 0
		.amdhsa_float_round_mode_16_64 0
		.amdhsa_float_denorm_mode_32 3
		.amdhsa_float_denorm_mode_16_64 3
		.amdhsa_dx10_clamp 1
		.amdhsa_ieee_mode 1
		.amdhsa_fp16_overflow 0
		.amdhsa_workgroup_processor_mode 1
		.amdhsa_memory_ordered 1
		.amdhsa_forward_progress 0
		.amdhsa_shared_vgpr_count 0
		.amdhsa_exception_fp_ieee_invalid_op 0
		.amdhsa_exception_fp_denorm_src 0
		.amdhsa_exception_fp_ieee_div_zero 0
		.amdhsa_exception_fp_ieee_overflow 0
		.amdhsa_exception_fp_ieee_underflow 0
		.amdhsa_exception_fp_ieee_inexact 0
		.amdhsa_exception_int_div_zero 0
	.end_amdhsa_kernel
	.section	.text._ZN2ck16tensor_operation6device12_GLOBAL__N_137kernel_grouped_conv_fwd_dl_multiple_dINS_32GridwiseGemmDlMultipleD_km_kn_mnILi256EffNS_5TupleIJfEEEfNS0_12element_wise11PassThroughES8_NS7_7AddReluELNS_25InMemoryDataOperationEnumE0ENS_16TensorDescriptorINS5_IJNS_5EmbedINS5_IJiiiEEESD_Lb0EEENS_11PassThroughIiEENS_3PadIiiiLb0EEESG_SG_NSC_INS5_IJiiEEESJ_Lb0EEESG_NS_23Merge_v2_magic_divisionISJ_EESM_NS_8RightPadIiiLb0EEESO_NS_7UnMergeISJ_Lb0EEESG_EEENS5_IJNS_8SequenceIJLi0EEEENSS_IJLi1EEEENSS_IJLi2EEEENSS_IJLi3EEEENSS_IJLi4EEEENSS_IJLi5EEEENSS_IJLi6EEEENSS_IJLi7ELi9EEEENSS_IJLi8ELi10EEEENSS_IJLi11EEEENSS_IJLi12EEEENSS_IJLi14EEEENSS_IJLi13EEEEEEENS5_IJNSS_IJLi1ELi2ELi3EEEESX_SY_SZ_NSS_IJLi7EEEENSS_IJLi8ELi9EEEENSS_IJLi10EEEES12_S13_S15_S14_NSS_IJLi15ELi16EEEENSS_IJLi17EEEEEEENSS_IJLi15ELi17ELi16EEEElEENSB_INS5_IJSQ_SO_SO_SQ_SG_EEENS5_IJST_SU_SV_SX_SW_EEENS5_IJNSS_IJLi1ELi2EEEESW_SX_NSS_IJLi5ELi6EEEES18_EEENSS_IJLi5ELi7ELi6EEEElEENSB_INS5_IJSK_SO_SO_EEENS5_IJST_SU_SV_EEENS5_IJS1I_SW_SX_EEENSS_IJLi3ELi4EEEElEELi128ELi128ELi16ELi1ELi4ELi4ELi1ENSS_IJLi8ELi2EEEES1S_NSS_IJLi8ELi1ELi1ELi1EEEENSS_IJLi2ELi1ELi128ELi1EEEENSS_IJLi1ELi2ELi0ELi3EEEES1V_NSS_IJLi4ELi1ELi1ELi1EEEES1V_NSS_IJLi1ELi1ELi1ELi1EEEES1T_S1U_S1V_S1V_S1W_S1V_S1X_NSS_IJLi0ELi1ELi2ELi3ELi4ELi5EEEELi5ELi4EEEfNS5_IJPKfEEEfS8_S8_S9_NSB_INS5_IJSE_SG_SI_SG_SG_SK_SG_SM_SM_SO_SO_SQ_SG_SG_NSP_INS5_IJiNS_17integral_constantIiLi128EEEEEELb0EEENSF_INS23_IiLi1EEEEEEEENS5_IJST_SU_SV_SW_SX_SY_SZ_S10_S11_S12_S13_S14_S15_NSS_IJLi15EEEES1C_NSS_IJLi16EEEEEEENS5_IJS17_SX_SY_SZ_S18_S19_S1A_S12_S13_S15_S14_S1B_S1C_NSS_IJLi18EEEENSS_IJLi19ELi20EEEENSS_IJLi21EEEEEEENSS_IJLi18ELi19ELi20ELi21EEEElEENSB_INS5_IJSQ_SO_SO_SQ_SG_SG_S26_S28_EEENS5_IJST_SU_SV_SX_SW_SY_S18_SZ_EEENS5_IJS1I_SW_SX_S1J_S18_NSS_IJLi8EEEENSS_IJLi9ELi10EEEES12_EEENSS_IJLi8ELi9ELi10ELi11EEEElEENS5_IJNSB_INS5_IJSK_SO_SO_NSP_INS5_IJiNS23_IiLi2EEENS23_IiLi64EEEEEELb0EEES2T_EEENS5_IJST_SU_SV_SW_SX_EEENS5_IJS1I_SW_SX_NSS_IJLi5ELi6ELi7EEEENSS_IJLi8ELi9ELi10EEEEEEENSS_IJLi5ELi6ELi7ELi8ELi9ELi10EEEElEEEEES30_NS_31BlockToCTileMap_M00_N00_M01_N01ILi128ELi128ES1R_Lb0EEENS1_30ComputePtrOffsetOfStridedBatchILi1ELi1ELi1EvEELb1ELb0EEEvPKT0_S38_T1_PT2_T3_T4_T5_iT6_T7_T8_T9_T10_T11_,"axG",@progbits,_ZN2ck16tensor_operation6device12_GLOBAL__N_137kernel_grouped_conv_fwd_dl_multiple_dINS_32GridwiseGemmDlMultipleD_km_kn_mnILi256EffNS_5TupleIJfEEEfNS0_12element_wise11PassThroughES8_NS7_7AddReluELNS_25InMemoryDataOperationEnumE0ENS_16TensorDescriptorINS5_IJNS_5EmbedINS5_IJiiiEEESD_Lb0EEENS_11PassThroughIiEENS_3PadIiiiLb0EEESG_SG_NSC_INS5_IJiiEEESJ_Lb0EEESG_NS_23Merge_v2_magic_divisionISJ_EESM_NS_8RightPadIiiLb0EEESO_NS_7UnMergeISJ_Lb0EEESG_EEENS5_IJNS_8SequenceIJLi0EEEENSS_IJLi1EEEENSS_IJLi2EEEENSS_IJLi3EEEENSS_IJLi4EEEENSS_IJLi5EEEENSS_IJLi6EEEENSS_IJLi7ELi9EEEENSS_IJLi8ELi10EEEENSS_IJLi11EEEENSS_IJLi12EEEENSS_IJLi14EEEENSS_IJLi13EEEEEEENS5_IJNSS_IJLi1ELi2ELi3EEEESX_SY_SZ_NSS_IJLi7EEEENSS_IJLi8ELi9EEEENSS_IJLi10EEEES12_S13_S15_S14_NSS_IJLi15ELi16EEEENSS_IJLi17EEEEEEENSS_IJLi15ELi17ELi16EEEElEENSB_INS5_IJSQ_SO_SO_SQ_SG_EEENS5_IJST_SU_SV_SX_SW_EEENS5_IJNSS_IJLi1ELi2EEEESW_SX_NSS_IJLi5ELi6EEEES18_EEENSS_IJLi5ELi7ELi6EEEElEENSB_INS5_IJSK_SO_SO_EEENS5_IJST_SU_SV_EEENS5_IJS1I_SW_SX_EEENSS_IJLi3ELi4EEEElEELi128ELi128ELi16ELi1ELi4ELi4ELi1ENSS_IJLi8ELi2EEEES1S_NSS_IJLi8ELi1ELi1ELi1EEEENSS_IJLi2ELi1ELi128ELi1EEEENSS_IJLi1ELi2ELi0ELi3EEEES1V_NSS_IJLi4ELi1ELi1ELi1EEEES1V_NSS_IJLi1ELi1ELi1ELi1EEEES1T_S1U_S1V_S1V_S1W_S1V_S1X_NSS_IJLi0ELi1ELi2ELi3ELi4ELi5EEEELi5ELi4EEEfNS5_IJPKfEEEfS8_S8_S9_NSB_INS5_IJSE_SG_SI_SG_SG_SK_SG_SM_SM_SO_SO_SQ_SG_SG_NSP_INS5_IJiNS_17integral_constantIiLi128EEEEEELb0EEENSF_INS23_IiLi1EEEEEEEENS5_IJST_SU_SV_SW_SX_SY_SZ_S10_S11_S12_S13_S14_S15_NSS_IJLi15EEEES1C_NSS_IJLi16EEEEEEENS5_IJS17_SX_SY_SZ_S18_S19_S1A_S12_S13_S15_S14_S1B_S1C_NSS_IJLi18EEEENSS_IJLi19ELi20EEEENSS_IJLi21EEEEEEENSS_IJLi18ELi19ELi20ELi21EEEElEENSB_INS5_IJSQ_SO_SO_SQ_SG_SG_S26_S28_EEENS5_IJST_SU_SV_SX_SW_SY_S18_SZ_EEENS5_IJS1I_SW_SX_S1J_S18_NSS_IJLi8EEEENSS_IJLi9ELi10EEEES12_EEENSS_IJLi8ELi9ELi10ELi11EEEElEENS5_IJNSB_INS5_IJSK_SO_SO_NSP_INS5_IJiNS23_IiLi2EEENS23_IiLi64EEEEEELb0EEES2T_EEENS5_IJST_SU_SV_SW_SX_EEENS5_IJS1I_SW_SX_NSS_IJLi5ELi6ELi7EEEENSS_IJLi8ELi9ELi10EEEEEEENSS_IJLi5ELi6ELi7ELi8ELi9ELi10EEEElEEEEES30_NS_31BlockToCTileMap_M00_N00_M01_N01ILi128ELi128ES1R_Lb0EEENS1_30ComputePtrOffsetOfStridedBatchILi1ELi1ELi1EvEELb1ELb0EEEvPKT0_S38_T1_PT2_T3_T4_T5_iT6_T7_T8_T9_T10_T11_,comdat
.Lfunc_end4:
	.size	_ZN2ck16tensor_operation6device12_GLOBAL__N_137kernel_grouped_conv_fwd_dl_multiple_dINS_32GridwiseGemmDlMultipleD_km_kn_mnILi256EffNS_5TupleIJfEEEfNS0_12element_wise11PassThroughES8_NS7_7AddReluELNS_25InMemoryDataOperationEnumE0ENS_16TensorDescriptorINS5_IJNS_5EmbedINS5_IJiiiEEESD_Lb0EEENS_11PassThroughIiEENS_3PadIiiiLb0EEESG_SG_NSC_INS5_IJiiEEESJ_Lb0EEESG_NS_23Merge_v2_magic_divisionISJ_EESM_NS_8RightPadIiiLb0EEESO_NS_7UnMergeISJ_Lb0EEESG_EEENS5_IJNS_8SequenceIJLi0EEEENSS_IJLi1EEEENSS_IJLi2EEEENSS_IJLi3EEEENSS_IJLi4EEEENSS_IJLi5EEEENSS_IJLi6EEEENSS_IJLi7ELi9EEEENSS_IJLi8ELi10EEEENSS_IJLi11EEEENSS_IJLi12EEEENSS_IJLi14EEEENSS_IJLi13EEEEEEENS5_IJNSS_IJLi1ELi2ELi3EEEESX_SY_SZ_NSS_IJLi7EEEENSS_IJLi8ELi9EEEENSS_IJLi10EEEES12_S13_S15_S14_NSS_IJLi15ELi16EEEENSS_IJLi17EEEEEEENSS_IJLi15ELi17ELi16EEEElEENSB_INS5_IJSQ_SO_SO_SQ_SG_EEENS5_IJST_SU_SV_SX_SW_EEENS5_IJNSS_IJLi1ELi2EEEESW_SX_NSS_IJLi5ELi6EEEES18_EEENSS_IJLi5ELi7ELi6EEEElEENSB_INS5_IJSK_SO_SO_EEENS5_IJST_SU_SV_EEENS5_IJS1I_SW_SX_EEENSS_IJLi3ELi4EEEElEELi128ELi128ELi16ELi1ELi4ELi4ELi1ENSS_IJLi8ELi2EEEES1S_NSS_IJLi8ELi1ELi1ELi1EEEENSS_IJLi2ELi1ELi128ELi1EEEENSS_IJLi1ELi2ELi0ELi3EEEES1V_NSS_IJLi4ELi1ELi1ELi1EEEES1V_NSS_IJLi1ELi1ELi1ELi1EEEES1T_S1U_S1V_S1V_S1W_S1V_S1X_NSS_IJLi0ELi1ELi2ELi3ELi4ELi5EEEELi5ELi4EEEfNS5_IJPKfEEEfS8_S8_S9_NSB_INS5_IJSE_SG_SI_SG_SG_SK_SG_SM_SM_SO_SO_SQ_SG_SG_NSP_INS5_IJiNS_17integral_constantIiLi128EEEEEELb0EEENSF_INS23_IiLi1EEEEEEEENS5_IJST_SU_SV_SW_SX_SY_SZ_S10_S11_S12_S13_S14_S15_NSS_IJLi15EEEES1C_NSS_IJLi16EEEEEEENS5_IJS17_SX_SY_SZ_S18_S19_S1A_S12_S13_S15_S14_S1B_S1C_NSS_IJLi18EEEENSS_IJLi19ELi20EEEENSS_IJLi21EEEEEEENSS_IJLi18ELi19ELi20ELi21EEEElEENSB_INS5_IJSQ_SO_SO_SQ_SG_SG_S26_S28_EEENS5_IJST_SU_SV_SX_SW_SY_S18_SZ_EEENS5_IJS1I_SW_SX_S1J_S18_NSS_IJLi8EEEENSS_IJLi9ELi10EEEES12_EEENSS_IJLi8ELi9ELi10ELi11EEEElEENS5_IJNSB_INS5_IJSK_SO_SO_NSP_INS5_IJiNS23_IiLi2EEENS23_IiLi64EEEEEELb0EEES2T_EEENS5_IJST_SU_SV_SW_SX_EEENS5_IJS1I_SW_SX_NSS_IJLi5ELi6ELi7EEEENSS_IJLi8ELi9ELi10EEEEEEENSS_IJLi5ELi6ELi7ELi8ELi9ELi10EEEElEEEEES30_NS_31BlockToCTileMap_M00_N00_M01_N01ILi128ELi128ES1R_Lb0EEENS1_30ComputePtrOffsetOfStridedBatchILi1ELi1ELi1EvEELb1ELb0EEEvPKT0_S38_T1_PT2_T3_T4_T5_iT6_T7_T8_T9_T10_T11_, .Lfunc_end4-_ZN2ck16tensor_operation6device12_GLOBAL__N_137kernel_grouped_conv_fwd_dl_multiple_dINS_32GridwiseGemmDlMultipleD_km_kn_mnILi256EffNS_5TupleIJfEEEfNS0_12element_wise11PassThroughES8_NS7_7AddReluELNS_25InMemoryDataOperationEnumE0ENS_16TensorDescriptorINS5_IJNS_5EmbedINS5_IJiiiEEESD_Lb0EEENS_11PassThroughIiEENS_3PadIiiiLb0EEESG_SG_NSC_INS5_IJiiEEESJ_Lb0EEESG_NS_23Merge_v2_magic_divisionISJ_EESM_NS_8RightPadIiiLb0EEESO_NS_7UnMergeISJ_Lb0EEESG_EEENS5_IJNS_8SequenceIJLi0EEEENSS_IJLi1EEEENSS_IJLi2EEEENSS_IJLi3EEEENSS_IJLi4EEEENSS_IJLi5EEEENSS_IJLi6EEEENSS_IJLi7ELi9EEEENSS_IJLi8ELi10EEEENSS_IJLi11EEEENSS_IJLi12EEEENSS_IJLi14EEEENSS_IJLi13EEEEEEENS5_IJNSS_IJLi1ELi2ELi3EEEESX_SY_SZ_NSS_IJLi7EEEENSS_IJLi8ELi9EEEENSS_IJLi10EEEES12_S13_S15_S14_NSS_IJLi15ELi16EEEENSS_IJLi17EEEEEEENSS_IJLi15ELi17ELi16EEEElEENSB_INS5_IJSQ_SO_SO_SQ_SG_EEENS5_IJST_SU_SV_SX_SW_EEENS5_IJNSS_IJLi1ELi2EEEESW_SX_NSS_IJLi5ELi6EEEES18_EEENSS_IJLi5ELi7ELi6EEEElEENSB_INS5_IJSK_SO_SO_EEENS5_IJST_SU_SV_EEENS5_IJS1I_SW_SX_EEENSS_IJLi3ELi4EEEElEELi128ELi128ELi16ELi1ELi4ELi4ELi1ENSS_IJLi8ELi2EEEES1S_NSS_IJLi8ELi1ELi1ELi1EEEENSS_IJLi2ELi1ELi128ELi1EEEENSS_IJLi1ELi2ELi0ELi3EEEES1V_NSS_IJLi4ELi1ELi1ELi1EEEES1V_NSS_IJLi1ELi1ELi1ELi1EEEES1T_S1U_S1V_S1V_S1W_S1V_S1X_NSS_IJLi0ELi1ELi2ELi3ELi4ELi5EEEELi5ELi4EEEfNS5_IJPKfEEEfS8_S8_S9_NSB_INS5_IJSE_SG_SI_SG_SG_SK_SG_SM_SM_SO_SO_SQ_SG_SG_NSP_INS5_IJiNS_17integral_constantIiLi128EEEEEELb0EEENSF_INS23_IiLi1EEEEEEEENS5_IJST_SU_SV_SW_SX_SY_SZ_S10_S11_S12_S13_S14_S15_NSS_IJLi15EEEES1C_NSS_IJLi16EEEEEEENS5_IJS17_SX_SY_SZ_S18_S19_S1A_S12_S13_S15_S14_S1B_S1C_NSS_IJLi18EEEENSS_IJLi19ELi20EEEENSS_IJLi21EEEEEEENSS_IJLi18ELi19ELi20ELi21EEEElEENSB_INS5_IJSQ_SO_SO_SQ_SG_SG_S26_S28_EEENS5_IJST_SU_SV_SX_SW_SY_S18_SZ_EEENS5_IJS1I_SW_SX_S1J_S18_NSS_IJLi8EEEENSS_IJLi9ELi10EEEES12_EEENSS_IJLi8ELi9ELi10ELi11EEEElEENS5_IJNSB_INS5_IJSK_SO_SO_NSP_INS5_IJiNS23_IiLi2EEENS23_IiLi64EEEEEELb0EEES2T_EEENS5_IJST_SU_SV_SW_SX_EEENS5_IJS1I_SW_SX_NSS_IJLi5ELi6ELi7EEEENSS_IJLi8ELi9ELi10EEEEEEENSS_IJLi5ELi6ELi7ELi8ELi9ELi10EEEElEEEEES30_NS_31BlockToCTileMap_M00_N00_M01_N01ILi128ELi128ES1R_Lb0EEENS1_30ComputePtrOffsetOfStridedBatchILi1ELi1ELi1EvEELb1ELb0EEEvPKT0_S38_T1_PT2_T3_T4_T5_iT6_T7_T8_T9_T10_T11_
                                        ; -- End function
	.section	.AMDGPU.csdata,"",@progbits
; Kernel info:
; codeLenInByte = 1688
; NumSgprs: 78
; NumVgprs: 242
; ScratchSize: 576
; MemoryBound: 0
; FloatMode: 240
; IeeeMode: 1
; LDSByteSize: 32768 bytes/workgroup (compile time only)
; SGPRBlocks: 9
; VGPRBlocks: 30
; NumSGPRsForWavesPerEU: 78
; NumVGPRsForWavesPerEU: 242
; Occupancy: 5
; WaveLimiterHint : 1
; COMPUTE_PGM_RSRC2:SCRATCH_EN: 1
; COMPUTE_PGM_RSRC2:USER_SGPR: 15
; COMPUTE_PGM_RSRC2:TRAP_HANDLER: 0
; COMPUTE_PGM_RSRC2:TGID_X_EN: 1
; COMPUTE_PGM_RSRC2:TGID_Y_EN: 0
; COMPUTE_PGM_RSRC2:TGID_Z_EN: 0
; COMPUTE_PGM_RSRC2:TIDIG_COMP_CNT: 0
	.section	.text._ZN2ck16tensor_operation6device12_GLOBAL__N_137kernel_grouped_conv_fwd_dl_multiple_dINS_32GridwiseGemmDlMultipleD_km_kn_mnILi256EffNS_5TupleIJfEEEfNS0_12element_wise11PassThroughES8_NS7_7AddReluELNS_25InMemoryDataOperationEnumE0ENS_16TensorDescriptorINS5_IJNS_5EmbedINS5_IJiiiEEESD_Lb0EEENS_11PassThroughIiEENS_3PadIiiiLb0EEESG_SG_NSC_INS5_IJiiEEESJ_Lb0EEESG_NS_23Merge_v2_magic_divisionISJ_EESM_NS_8RightPadIiiLb0EEESO_NS_7UnMergeISJ_Lb0EEESG_EEENS5_IJNS_8SequenceIJLi0EEEENSS_IJLi1EEEENSS_IJLi2EEEENSS_IJLi3EEEENSS_IJLi4EEEENSS_IJLi5EEEENSS_IJLi6EEEENSS_IJLi7ELi9EEEENSS_IJLi8ELi10EEEENSS_IJLi11EEEENSS_IJLi12EEEENSS_IJLi14EEEENSS_IJLi13EEEEEEENS5_IJNSS_IJLi1ELi2ELi3EEEESX_SY_SZ_NSS_IJLi7EEEENSS_IJLi8ELi9EEEENSS_IJLi10EEEES12_S13_S15_S14_NSS_IJLi15ELi16EEEENSS_IJLi17EEEEEEENSS_IJLi15ELi17ELi16EEEElEENSB_INS5_IJSQ_SO_SO_SQ_SG_EEENS5_IJST_SU_SV_SX_SW_EEENS5_IJNSS_IJLi1ELi2EEEESW_SX_NSS_IJLi5ELi6EEEES18_EEENSS_IJLi5ELi7ELi6EEEElEENSB_INS5_IJSK_SO_SO_EEENS5_IJST_SU_SV_EEENS5_IJS1I_SW_SX_EEENSS_IJLi3ELi4EEEElEELi128ELi128ELi16ELi1ELi4ELi4ELi1ENSS_IJLi8ELi2EEEES1S_NSS_IJLi8ELi1ELi1ELi1EEEENSS_IJLi2ELi1ELi128ELi1EEEENSS_IJLi1ELi2ELi0ELi3EEEES1V_NSS_IJLi4ELi1ELi1ELi1EEEES1V_NSS_IJLi1ELi1ELi1ELi1EEEES1T_S1U_S1V_S1V_S1W_S1V_S1X_NSS_IJLi0ELi1ELi2ELi3ELi4ELi5EEEELi5ELi4EEEfNS5_IJPKfEEEfS8_S8_S9_NSB_INS5_IJSE_SG_SI_SG_SG_SK_SG_SM_SM_SO_SO_SQ_SG_SG_NSP_INS5_IJiNS_17integral_constantIiLi128EEEEEELb0EEENSF_INS23_IiLi1EEEEEEEENS5_IJST_SU_SV_SW_SX_SY_SZ_S10_S11_S12_S13_S14_S15_NSS_IJLi15EEEES1C_NSS_IJLi16EEEEEEENS5_IJS17_SX_SY_SZ_S18_S19_S1A_S12_S13_S15_S14_S1B_S1C_NSS_IJLi18EEEENSS_IJLi19ELi20EEEENSS_IJLi21EEEEEEENSS_IJLi18ELi19ELi20ELi21EEEElEENSB_INS5_IJSQ_SO_SO_SQ_SG_SG_S26_S28_EEENS5_IJST_SU_SV_SX_SW_SY_S18_SZ_EEENS5_IJS1I_SW_SX_S1J_S18_NSS_IJLi8EEEENSS_IJLi9ELi10EEEES12_EEENSS_IJLi8ELi9ELi10ELi11EEEElEENS5_IJNSB_INS5_IJSK_SO_SO_NSP_INS5_IJiNS23_IiLi2EEENS23_IiLi64EEEEEELb0EEES2T_EEENS5_IJST_SU_SV_SW_SX_EEENS5_IJS1I_SW_SX_NSS_IJLi5ELi6ELi7EEEENSS_IJLi8ELi9ELi10EEEEEEENSS_IJLi5ELi6ELi7ELi8ELi9ELi10EEEElEEEEES30_NS_31BlockToCTileMap_M00_N00_M01_N01ILi128ELi128ES1R_Lb0EEENS1_30ComputePtrOffsetOfStridedBatchILi1ELi1ELi1EvEELb0ELb1EEEvPKT0_S38_T1_PT2_T3_T4_T5_iT6_T7_T8_T9_T10_T11_,"axG",@progbits,_ZN2ck16tensor_operation6device12_GLOBAL__N_137kernel_grouped_conv_fwd_dl_multiple_dINS_32GridwiseGemmDlMultipleD_km_kn_mnILi256EffNS_5TupleIJfEEEfNS0_12element_wise11PassThroughES8_NS7_7AddReluELNS_25InMemoryDataOperationEnumE0ENS_16TensorDescriptorINS5_IJNS_5EmbedINS5_IJiiiEEESD_Lb0EEENS_11PassThroughIiEENS_3PadIiiiLb0EEESG_SG_NSC_INS5_IJiiEEESJ_Lb0EEESG_NS_23Merge_v2_magic_divisionISJ_EESM_NS_8RightPadIiiLb0EEESO_NS_7UnMergeISJ_Lb0EEESG_EEENS5_IJNS_8SequenceIJLi0EEEENSS_IJLi1EEEENSS_IJLi2EEEENSS_IJLi3EEEENSS_IJLi4EEEENSS_IJLi5EEEENSS_IJLi6EEEENSS_IJLi7ELi9EEEENSS_IJLi8ELi10EEEENSS_IJLi11EEEENSS_IJLi12EEEENSS_IJLi14EEEENSS_IJLi13EEEEEEENS5_IJNSS_IJLi1ELi2ELi3EEEESX_SY_SZ_NSS_IJLi7EEEENSS_IJLi8ELi9EEEENSS_IJLi10EEEES12_S13_S15_S14_NSS_IJLi15ELi16EEEENSS_IJLi17EEEEEEENSS_IJLi15ELi17ELi16EEEElEENSB_INS5_IJSQ_SO_SO_SQ_SG_EEENS5_IJST_SU_SV_SX_SW_EEENS5_IJNSS_IJLi1ELi2EEEESW_SX_NSS_IJLi5ELi6EEEES18_EEENSS_IJLi5ELi7ELi6EEEElEENSB_INS5_IJSK_SO_SO_EEENS5_IJST_SU_SV_EEENS5_IJS1I_SW_SX_EEENSS_IJLi3ELi4EEEElEELi128ELi128ELi16ELi1ELi4ELi4ELi1ENSS_IJLi8ELi2EEEES1S_NSS_IJLi8ELi1ELi1ELi1EEEENSS_IJLi2ELi1ELi128ELi1EEEENSS_IJLi1ELi2ELi0ELi3EEEES1V_NSS_IJLi4ELi1ELi1ELi1EEEES1V_NSS_IJLi1ELi1ELi1ELi1EEEES1T_S1U_S1V_S1V_S1W_S1V_S1X_NSS_IJLi0ELi1ELi2ELi3ELi4ELi5EEEELi5ELi4EEEfNS5_IJPKfEEEfS8_S8_S9_NSB_INS5_IJSE_SG_SI_SG_SG_SK_SG_SM_SM_SO_SO_SQ_SG_SG_NSP_INS5_IJiNS_17integral_constantIiLi128EEEEEELb0EEENSF_INS23_IiLi1EEEEEEEENS5_IJST_SU_SV_SW_SX_SY_SZ_S10_S11_S12_S13_S14_S15_NSS_IJLi15EEEES1C_NSS_IJLi16EEEEEEENS5_IJS17_SX_SY_SZ_S18_S19_S1A_S12_S13_S15_S14_S1B_S1C_NSS_IJLi18EEEENSS_IJLi19ELi20EEEENSS_IJLi21EEEEEEENSS_IJLi18ELi19ELi20ELi21EEEElEENSB_INS5_IJSQ_SO_SO_SQ_SG_SG_S26_S28_EEENS5_IJST_SU_SV_SX_SW_SY_S18_SZ_EEENS5_IJS1I_SW_SX_S1J_S18_NSS_IJLi8EEEENSS_IJLi9ELi10EEEES12_EEENSS_IJLi8ELi9ELi10ELi11EEEElEENS5_IJNSB_INS5_IJSK_SO_SO_NSP_INS5_IJiNS23_IiLi2EEENS23_IiLi64EEEEEELb0EEES2T_EEENS5_IJST_SU_SV_SW_SX_EEENS5_IJS1I_SW_SX_NSS_IJLi5ELi6ELi7EEEENSS_IJLi8ELi9ELi10EEEEEEENSS_IJLi5ELi6ELi7ELi8ELi9ELi10EEEElEEEEES30_NS_31BlockToCTileMap_M00_N00_M01_N01ILi128ELi128ES1R_Lb0EEENS1_30ComputePtrOffsetOfStridedBatchILi1ELi1ELi1EvEELb0ELb1EEEvPKT0_S38_T1_PT2_T3_T4_T5_iT6_T7_T8_T9_T10_T11_,comdat
	.globl	_ZN2ck16tensor_operation6device12_GLOBAL__N_137kernel_grouped_conv_fwd_dl_multiple_dINS_32GridwiseGemmDlMultipleD_km_kn_mnILi256EffNS_5TupleIJfEEEfNS0_12element_wise11PassThroughES8_NS7_7AddReluELNS_25InMemoryDataOperationEnumE0ENS_16TensorDescriptorINS5_IJNS_5EmbedINS5_IJiiiEEESD_Lb0EEENS_11PassThroughIiEENS_3PadIiiiLb0EEESG_SG_NSC_INS5_IJiiEEESJ_Lb0EEESG_NS_23Merge_v2_magic_divisionISJ_EESM_NS_8RightPadIiiLb0EEESO_NS_7UnMergeISJ_Lb0EEESG_EEENS5_IJNS_8SequenceIJLi0EEEENSS_IJLi1EEEENSS_IJLi2EEEENSS_IJLi3EEEENSS_IJLi4EEEENSS_IJLi5EEEENSS_IJLi6EEEENSS_IJLi7ELi9EEEENSS_IJLi8ELi10EEEENSS_IJLi11EEEENSS_IJLi12EEEENSS_IJLi14EEEENSS_IJLi13EEEEEEENS5_IJNSS_IJLi1ELi2ELi3EEEESX_SY_SZ_NSS_IJLi7EEEENSS_IJLi8ELi9EEEENSS_IJLi10EEEES12_S13_S15_S14_NSS_IJLi15ELi16EEEENSS_IJLi17EEEEEEENSS_IJLi15ELi17ELi16EEEElEENSB_INS5_IJSQ_SO_SO_SQ_SG_EEENS5_IJST_SU_SV_SX_SW_EEENS5_IJNSS_IJLi1ELi2EEEESW_SX_NSS_IJLi5ELi6EEEES18_EEENSS_IJLi5ELi7ELi6EEEElEENSB_INS5_IJSK_SO_SO_EEENS5_IJST_SU_SV_EEENS5_IJS1I_SW_SX_EEENSS_IJLi3ELi4EEEElEELi128ELi128ELi16ELi1ELi4ELi4ELi1ENSS_IJLi8ELi2EEEES1S_NSS_IJLi8ELi1ELi1ELi1EEEENSS_IJLi2ELi1ELi128ELi1EEEENSS_IJLi1ELi2ELi0ELi3EEEES1V_NSS_IJLi4ELi1ELi1ELi1EEEES1V_NSS_IJLi1ELi1ELi1ELi1EEEES1T_S1U_S1V_S1V_S1W_S1V_S1X_NSS_IJLi0ELi1ELi2ELi3ELi4ELi5EEEELi5ELi4EEEfNS5_IJPKfEEEfS8_S8_S9_NSB_INS5_IJSE_SG_SI_SG_SG_SK_SG_SM_SM_SO_SO_SQ_SG_SG_NSP_INS5_IJiNS_17integral_constantIiLi128EEEEEELb0EEENSF_INS23_IiLi1EEEEEEEENS5_IJST_SU_SV_SW_SX_SY_SZ_S10_S11_S12_S13_S14_S15_NSS_IJLi15EEEES1C_NSS_IJLi16EEEEEEENS5_IJS17_SX_SY_SZ_S18_S19_S1A_S12_S13_S15_S14_S1B_S1C_NSS_IJLi18EEEENSS_IJLi19ELi20EEEENSS_IJLi21EEEEEEENSS_IJLi18ELi19ELi20ELi21EEEElEENSB_INS5_IJSQ_SO_SO_SQ_SG_SG_S26_S28_EEENS5_IJST_SU_SV_SX_SW_SY_S18_SZ_EEENS5_IJS1I_SW_SX_S1J_S18_NSS_IJLi8EEEENSS_IJLi9ELi10EEEES12_EEENSS_IJLi8ELi9ELi10ELi11EEEElEENS5_IJNSB_INS5_IJSK_SO_SO_NSP_INS5_IJiNS23_IiLi2EEENS23_IiLi64EEEEEELb0EEES2T_EEENS5_IJST_SU_SV_SW_SX_EEENS5_IJS1I_SW_SX_NSS_IJLi5ELi6ELi7EEEENSS_IJLi8ELi9ELi10EEEEEEENSS_IJLi5ELi6ELi7ELi8ELi9ELi10EEEElEEEEES30_NS_31BlockToCTileMap_M00_N00_M01_N01ILi128ELi128ES1R_Lb0EEENS1_30ComputePtrOffsetOfStridedBatchILi1ELi1ELi1EvEELb0ELb1EEEvPKT0_S38_T1_PT2_T3_T4_T5_iT6_T7_T8_T9_T10_T11_ ; -- Begin function _ZN2ck16tensor_operation6device12_GLOBAL__N_137kernel_grouped_conv_fwd_dl_multiple_dINS_32GridwiseGemmDlMultipleD_km_kn_mnILi256EffNS_5TupleIJfEEEfNS0_12element_wise11PassThroughES8_NS7_7AddReluELNS_25InMemoryDataOperationEnumE0ENS_16TensorDescriptorINS5_IJNS_5EmbedINS5_IJiiiEEESD_Lb0EEENS_11PassThroughIiEENS_3PadIiiiLb0EEESG_SG_NSC_INS5_IJiiEEESJ_Lb0EEESG_NS_23Merge_v2_magic_divisionISJ_EESM_NS_8RightPadIiiLb0EEESO_NS_7UnMergeISJ_Lb0EEESG_EEENS5_IJNS_8SequenceIJLi0EEEENSS_IJLi1EEEENSS_IJLi2EEEENSS_IJLi3EEEENSS_IJLi4EEEENSS_IJLi5EEEENSS_IJLi6EEEENSS_IJLi7ELi9EEEENSS_IJLi8ELi10EEEENSS_IJLi11EEEENSS_IJLi12EEEENSS_IJLi14EEEENSS_IJLi13EEEEEEENS5_IJNSS_IJLi1ELi2ELi3EEEESX_SY_SZ_NSS_IJLi7EEEENSS_IJLi8ELi9EEEENSS_IJLi10EEEES12_S13_S15_S14_NSS_IJLi15ELi16EEEENSS_IJLi17EEEEEEENSS_IJLi15ELi17ELi16EEEElEENSB_INS5_IJSQ_SO_SO_SQ_SG_EEENS5_IJST_SU_SV_SX_SW_EEENS5_IJNSS_IJLi1ELi2EEEESW_SX_NSS_IJLi5ELi6EEEES18_EEENSS_IJLi5ELi7ELi6EEEElEENSB_INS5_IJSK_SO_SO_EEENS5_IJST_SU_SV_EEENS5_IJS1I_SW_SX_EEENSS_IJLi3ELi4EEEElEELi128ELi128ELi16ELi1ELi4ELi4ELi1ENSS_IJLi8ELi2EEEES1S_NSS_IJLi8ELi1ELi1ELi1EEEENSS_IJLi2ELi1ELi128ELi1EEEENSS_IJLi1ELi2ELi0ELi3EEEES1V_NSS_IJLi4ELi1ELi1ELi1EEEES1V_NSS_IJLi1ELi1ELi1ELi1EEEES1T_S1U_S1V_S1V_S1W_S1V_S1X_NSS_IJLi0ELi1ELi2ELi3ELi4ELi5EEEELi5ELi4EEEfNS5_IJPKfEEEfS8_S8_S9_NSB_INS5_IJSE_SG_SI_SG_SG_SK_SG_SM_SM_SO_SO_SQ_SG_SG_NSP_INS5_IJiNS_17integral_constantIiLi128EEEEEELb0EEENSF_INS23_IiLi1EEEEEEEENS5_IJST_SU_SV_SW_SX_SY_SZ_S10_S11_S12_S13_S14_S15_NSS_IJLi15EEEES1C_NSS_IJLi16EEEEEEENS5_IJS17_SX_SY_SZ_S18_S19_S1A_S12_S13_S15_S14_S1B_S1C_NSS_IJLi18EEEENSS_IJLi19ELi20EEEENSS_IJLi21EEEEEEENSS_IJLi18ELi19ELi20ELi21EEEElEENSB_INS5_IJSQ_SO_SO_SQ_SG_SG_S26_S28_EEENS5_IJST_SU_SV_SX_SW_SY_S18_SZ_EEENS5_IJS1I_SW_SX_S1J_S18_NSS_IJLi8EEEENSS_IJLi9ELi10EEEES12_EEENSS_IJLi8ELi9ELi10ELi11EEEElEENS5_IJNSB_INS5_IJSK_SO_SO_NSP_INS5_IJiNS23_IiLi2EEENS23_IiLi64EEEEEELb0EEES2T_EEENS5_IJST_SU_SV_SW_SX_EEENS5_IJS1I_SW_SX_NSS_IJLi5ELi6ELi7EEEENSS_IJLi8ELi9ELi10EEEEEEENSS_IJLi5ELi6ELi7ELi8ELi9ELi10EEEElEEEEES30_NS_31BlockToCTileMap_M00_N00_M01_N01ILi128ELi128ES1R_Lb0EEENS1_30ComputePtrOffsetOfStridedBatchILi1ELi1ELi1EvEELb0ELb1EEEvPKT0_S38_T1_PT2_T3_T4_T5_iT6_T7_T8_T9_T10_T11_
	.p2align	8
	.type	_ZN2ck16tensor_operation6device12_GLOBAL__N_137kernel_grouped_conv_fwd_dl_multiple_dINS_32GridwiseGemmDlMultipleD_km_kn_mnILi256EffNS_5TupleIJfEEEfNS0_12element_wise11PassThroughES8_NS7_7AddReluELNS_25InMemoryDataOperationEnumE0ENS_16TensorDescriptorINS5_IJNS_5EmbedINS5_IJiiiEEESD_Lb0EEENS_11PassThroughIiEENS_3PadIiiiLb0EEESG_SG_NSC_INS5_IJiiEEESJ_Lb0EEESG_NS_23Merge_v2_magic_divisionISJ_EESM_NS_8RightPadIiiLb0EEESO_NS_7UnMergeISJ_Lb0EEESG_EEENS5_IJNS_8SequenceIJLi0EEEENSS_IJLi1EEEENSS_IJLi2EEEENSS_IJLi3EEEENSS_IJLi4EEEENSS_IJLi5EEEENSS_IJLi6EEEENSS_IJLi7ELi9EEEENSS_IJLi8ELi10EEEENSS_IJLi11EEEENSS_IJLi12EEEENSS_IJLi14EEEENSS_IJLi13EEEEEEENS5_IJNSS_IJLi1ELi2ELi3EEEESX_SY_SZ_NSS_IJLi7EEEENSS_IJLi8ELi9EEEENSS_IJLi10EEEES12_S13_S15_S14_NSS_IJLi15ELi16EEEENSS_IJLi17EEEEEEENSS_IJLi15ELi17ELi16EEEElEENSB_INS5_IJSQ_SO_SO_SQ_SG_EEENS5_IJST_SU_SV_SX_SW_EEENS5_IJNSS_IJLi1ELi2EEEESW_SX_NSS_IJLi5ELi6EEEES18_EEENSS_IJLi5ELi7ELi6EEEElEENSB_INS5_IJSK_SO_SO_EEENS5_IJST_SU_SV_EEENS5_IJS1I_SW_SX_EEENSS_IJLi3ELi4EEEElEELi128ELi128ELi16ELi1ELi4ELi4ELi1ENSS_IJLi8ELi2EEEES1S_NSS_IJLi8ELi1ELi1ELi1EEEENSS_IJLi2ELi1ELi128ELi1EEEENSS_IJLi1ELi2ELi0ELi3EEEES1V_NSS_IJLi4ELi1ELi1ELi1EEEES1V_NSS_IJLi1ELi1ELi1ELi1EEEES1T_S1U_S1V_S1V_S1W_S1V_S1X_NSS_IJLi0ELi1ELi2ELi3ELi4ELi5EEEELi5ELi4EEEfNS5_IJPKfEEEfS8_S8_S9_NSB_INS5_IJSE_SG_SI_SG_SG_SK_SG_SM_SM_SO_SO_SQ_SG_SG_NSP_INS5_IJiNS_17integral_constantIiLi128EEEEEELb0EEENSF_INS23_IiLi1EEEEEEEENS5_IJST_SU_SV_SW_SX_SY_SZ_S10_S11_S12_S13_S14_S15_NSS_IJLi15EEEES1C_NSS_IJLi16EEEEEEENS5_IJS17_SX_SY_SZ_S18_S19_S1A_S12_S13_S15_S14_S1B_S1C_NSS_IJLi18EEEENSS_IJLi19ELi20EEEENSS_IJLi21EEEEEEENSS_IJLi18ELi19ELi20ELi21EEEElEENSB_INS5_IJSQ_SO_SO_SQ_SG_SG_S26_S28_EEENS5_IJST_SU_SV_SX_SW_SY_S18_SZ_EEENS5_IJS1I_SW_SX_S1J_S18_NSS_IJLi8EEEENSS_IJLi9ELi10EEEES12_EEENSS_IJLi8ELi9ELi10ELi11EEEElEENS5_IJNSB_INS5_IJSK_SO_SO_NSP_INS5_IJiNS23_IiLi2EEENS23_IiLi64EEEEEELb0EEES2T_EEENS5_IJST_SU_SV_SW_SX_EEENS5_IJS1I_SW_SX_NSS_IJLi5ELi6ELi7EEEENSS_IJLi8ELi9ELi10EEEEEEENSS_IJLi5ELi6ELi7ELi8ELi9ELi10EEEElEEEEES30_NS_31BlockToCTileMap_M00_N00_M01_N01ILi128ELi128ES1R_Lb0EEENS1_30ComputePtrOffsetOfStridedBatchILi1ELi1ELi1EvEELb0ELb1EEEvPKT0_S38_T1_PT2_T3_T4_T5_iT6_T7_T8_T9_T10_T11_,@function
_ZN2ck16tensor_operation6device12_GLOBAL__N_137kernel_grouped_conv_fwd_dl_multiple_dINS_32GridwiseGemmDlMultipleD_km_kn_mnILi256EffNS_5TupleIJfEEEfNS0_12element_wise11PassThroughES8_NS7_7AddReluELNS_25InMemoryDataOperationEnumE0ENS_16TensorDescriptorINS5_IJNS_5EmbedINS5_IJiiiEEESD_Lb0EEENS_11PassThroughIiEENS_3PadIiiiLb0EEESG_SG_NSC_INS5_IJiiEEESJ_Lb0EEESG_NS_23Merge_v2_magic_divisionISJ_EESM_NS_8RightPadIiiLb0EEESO_NS_7UnMergeISJ_Lb0EEESG_EEENS5_IJNS_8SequenceIJLi0EEEENSS_IJLi1EEEENSS_IJLi2EEEENSS_IJLi3EEEENSS_IJLi4EEEENSS_IJLi5EEEENSS_IJLi6EEEENSS_IJLi7ELi9EEEENSS_IJLi8ELi10EEEENSS_IJLi11EEEENSS_IJLi12EEEENSS_IJLi14EEEENSS_IJLi13EEEEEEENS5_IJNSS_IJLi1ELi2ELi3EEEESX_SY_SZ_NSS_IJLi7EEEENSS_IJLi8ELi9EEEENSS_IJLi10EEEES12_S13_S15_S14_NSS_IJLi15ELi16EEEENSS_IJLi17EEEEEEENSS_IJLi15ELi17ELi16EEEElEENSB_INS5_IJSQ_SO_SO_SQ_SG_EEENS5_IJST_SU_SV_SX_SW_EEENS5_IJNSS_IJLi1ELi2EEEESW_SX_NSS_IJLi5ELi6EEEES18_EEENSS_IJLi5ELi7ELi6EEEElEENSB_INS5_IJSK_SO_SO_EEENS5_IJST_SU_SV_EEENS5_IJS1I_SW_SX_EEENSS_IJLi3ELi4EEEElEELi128ELi128ELi16ELi1ELi4ELi4ELi1ENSS_IJLi8ELi2EEEES1S_NSS_IJLi8ELi1ELi1ELi1EEEENSS_IJLi2ELi1ELi128ELi1EEEENSS_IJLi1ELi2ELi0ELi3EEEES1V_NSS_IJLi4ELi1ELi1ELi1EEEES1V_NSS_IJLi1ELi1ELi1ELi1EEEES1T_S1U_S1V_S1V_S1W_S1V_S1X_NSS_IJLi0ELi1ELi2ELi3ELi4ELi5EEEELi5ELi4EEEfNS5_IJPKfEEEfS8_S8_S9_NSB_INS5_IJSE_SG_SI_SG_SG_SK_SG_SM_SM_SO_SO_SQ_SG_SG_NSP_INS5_IJiNS_17integral_constantIiLi128EEEEEELb0EEENSF_INS23_IiLi1EEEEEEEENS5_IJST_SU_SV_SW_SX_SY_SZ_S10_S11_S12_S13_S14_S15_NSS_IJLi15EEEES1C_NSS_IJLi16EEEEEEENS5_IJS17_SX_SY_SZ_S18_S19_S1A_S12_S13_S15_S14_S1B_S1C_NSS_IJLi18EEEENSS_IJLi19ELi20EEEENSS_IJLi21EEEEEEENSS_IJLi18ELi19ELi20ELi21EEEElEENSB_INS5_IJSQ_SO_SO_SQ_SG_SG_S26_S28_EEENS5_IJST_SU_SV_SX_SW_SY_S18_SZ_EEENS5_IJS1I_SW_SX_S1J_S18_NSS_IJLi8EEEENSS_IJLi9ELi10EEEES12_EEENSS_IJLi8ELi9ELi10ELi11EEEElEENS5_IJNSB_INS5_IJSK_SO_SO_NSP_INS5_IJiNS23_IiLi2EEENS23_IiLi64EEEEEELb0EEES2T_EEENS5_IJST_SU_SV_SW_SX_EEENS5_IJS1I_SW_SX_NSS_IJLi5ELi6ELi7EEEENSS_IJLi8ELi9ELi10EEEEEEENSS_IJLi5ELi6ELi7ELi8ELi9ELi10EEEElEEEEES30_NS_31BlockToCTileMap_M00_N00_M01_N01ILi128ELi128ES1R_Lb0EEENS1_30ComputePtrOffsetOfStridedBatchILi1ELi1ELi1EvEELb0ELb1EEEvPKT0_S38_T1_PT2_T3_T4_T5_iT6_T7_T8_T9_T10_T11_: ; @_ZN2ck16tensor_operation6device12_GLOBAL__N_137kernel_grouped_conv_fwd_dl_multiple_dINS_32GridwiseGemmDlMultipleD_km_kn_mnILi256EffNS_5TupleIJfEEEfNS0_12element_wise11PassThroughES8_NS7_7AddReluELNS_25InMemoryDataOperationEnumE0ENS_16TensorDescriptorINS5_IJNS_5EmbedINS5_IJiiiEEESD_Lb0EEENS_11PassThroughIiEENS_3PadIiiiLb0EEESG_SG_NSC_INS5_IJiiEEESJ_Lb0EEESG_NS_23Merge_v2_magic_divisionISJ_EESM_NS_8RightPadIiiLb0EEESO_NS_7UnMergeISJ_Lb0EEESG_EEENS5_IJNS_8SequenceIJLi0EEEENSS_IJLi1EEEENSS_IJLi2EEEENSS_IJLi3EEEENSS_IJLi4EEEENSS_IJLi5EEEENSS_IJLi6EEEENSS_IJLi7ELi9EEEENSS_IJLi8ELi10EEEENSS_IJLi11EEEENSS_IJLi12EEEENSS_IJLi14EEEENSS_IJLi13EEEEEEENS5_IJNSS_IJLi1ELi2ELi3EEEESX_SY_SZ_NSS_IJLi7EEEENSS_IJLi8ELi9EEEENSS_IJLi10EEEES12_S13_S15_S14_NSS_IJLi15ELi16EEEENSS_IJLi17EEEEEEENSS_IJLi15ELi17ELi16EEEElEENSB_INS5_IJSQ_SO_SO_SQ_SG_EEENS5_IJST_SU_SV_SX_SW_EEENS5_IJNSS_IJLi1ELi2EEEESW_SX_NSS_IJLi5ELi6EEEES18_EEENSS_IJLi5ELi7ELi6EEEElEENSB_INS5_IJSK_SO_SO_EEENS5_IJST_SU_SV_EEENS5_IJS1I_SW_SX_EEENSS_IJLi3ELi4EEEElEELi128ELi128ELi16ELi1ELi4ELi4ELi1ENSS_IJLi8ELi2EEEES1S_NSS_IJLi8ELi1ELi1ELi1EEEENSS_IJLi2ELi1ELi128ELi1EEEENSS_IJLi1ELi2ELi0ELi3EEEES1V_NSS_IJLi4ELi1ELi1ELi1EEEES1V_NSS_IJLi1ELi1ELi1ELi1EEEES1T_S1U_S1V_S1V_S1W_S1V_S1X_NSS_IJLi0ELi1ELi2ELi3ELi4ELi5EEEELi5ELi4EEEfNS5_IJPKfEEEfS8_S8_S9_NSB_INS5_IJSE_SG_SI_SG_SG_SK_SG_SM_SM_SO_SO_SQ_SG_SG_NSP_INS5_IJiNS_17integral_constantIiLi128EEEEEELb0EEENSF_INS23_IiLi1EEEEEEEENS5_IJST_SU_SV_SW_SX_SY_SZ_S10_S11_S12_S13_S14_S15_NSS_IJLi15EEEES1C_NSS_IJLi16EEEEEEENS5_IJS17_SX_SY_SZ_S18_S19_S1A_S12_S13_S15_S14_S1B_S1C_NSS_IJLi18EEEENSS_IJLi19ELi20EEEENSS_IJLi21EEEEEEENSS_IJLi18ELi19ELi20ELi21EEEElEENSB_INS5_IJSQ_SO_SO_SQ_SG_SG_S26_S28_EEENS5_IJST_SU_SV_SX_SW_SY_S18_SZ_EEENS5_IJS1I_SW_SX_S1J_S18_NSS_IJLi8EEEENSS_IJLi9ELi10EEEES12_EEENSS_IJLi8ELi9ELi10ELi11EEEElEENS5_IJNSB_INS5_IJSK_SO_SO_NSP_INS5_IJiNS23_IiLi2EEENS23_IiLi64EEEEEELb0EEES2T_EEENS5_IJST_SU_SV_SW_SX_EEENS5_IJS1I_SW_SX_NSS_IJLi5ELi6ELi7EEEENSS_IJLi8ELi9ELi10EEEEEEENSS_IJLi5ELi6ELi7ELi8ELi9ELi10EEEElEEEEES30_NS_31BlockToCTileMap_M00_N00_M01_N01ILi128ELi128ES1R_Lb0EEENS1_30ComputePtrOffsetOfStridedBatchILi1ELi1ELi1EvEELb0ELb1EEEvPKT0_S38_T1_PT2_T3_T4_T5_iT6_T7_T8_T9_T10_T11_
; %bb.0:
	s_clause 0x4
	s_load_b32 s2, s[0:1], 0x24
	s_load_b32 s35, s[0:1], 0xc4
	s_load_b128 s[44:47], s[0:1], 0x234
	s_load_b32 s4, s[0:1], 0x288
	s_load_b128 s[40:43], s[0:1], 0x248
	v_lshrrev_b32_e32 v43, 1, v0
	v_dual_mov_b32 v48, 0 :: v_dual_lshlrev_b32 v81, 1, v0
	v_lshrrev_b32_e32 v80, 5, v0
	s_delay_alu instid0(VALU_DEP_3) | instskip(SKIP_1) | instid1(VALU_DEP_3)
	v_dual_mov_b32 v51, 0 :: v_dual_lshlrev_b32 v84, 2, v43
	v_dual_mov_b32 v52, 0 :: v_dual_mov_b32 v27, 0
	v_lshlrev_b32_e32 v82, 6, v80
	v_and_b32_e32 v83, 0x1f8, v81
	v_dual_mov_b32 v38, 0 :: v_dual_and_b32 v81, 0x1fc, v81
	v_dual_mov_b32 v25, 0 :: v_dual_mov_b32 v40, 0
	v_mov_b32_e32 v77, 0
	s_waitcnt lgkmcnt(0)
	s_abs_i32 s3, s2
	v_dual_mov_b32 v44, 0 :: v_dual_mov_b32 v75, 0
	v_cvt_f32_u32_e32 v1, s3
	s_sub_i32 s6, 0, s3
	s_abs_i32 s7, s4
	s_xor_b32 s2, s4, s2
	v_dual_mov_b32 v28, 0 :: v_dual_mov_b32 v67, 0
	v_rcp_iflag_f32_e32 v1, v1
	s_ashr_i32 s2, s2, 31
	v_dual_mov_b32 v26, 0 :: v_dual_mov_b32 v69, 0
	v_dual_mov_b32 v78, 0 :: v_dual_mov_b32 v59, 0
	;; [unrolled: 1-line block ×4, first 2 shown]
	s_waitcnt_depctr 0xfff
	v_dual_mul_f32 v1, 0x4f7ffffe, v1 :: v_dual_mov_b32 v72, 0
	v_dual_mov_b32 v35, 0 :: v_dual_mov_b32 v58, 0
	v_mov_b32_e32 v45, 0
	s_delay_alu instid0(VALU_DEP_3) | instskip(SKIP_2) | instid1(VALU_DEP_3)
	v_cvt_u32_f32_e32 v1, v1
	v_dual_mov_b32 v56, 0 :: v_dual_mov_b32 v47, 0
	v_dual_mov_b32 v46, 0 :: v_dual_mov_b32 v41, 0
	v_readfirstlane_b32 s5, v1
	v_dual_mov_b32 v34, 0 :: v_dual_mov_b32 v31, 0
	v_dual_mov_b32 v36, 0 :: v_dual_mov_b32 v29, 0
	s_delay_alu instid0(VALU_DEP_3)
	s_mul_i32 s6, s6, s5
	v_dual_mov_b32 v30, 0 :: v_dual_mov_b32 v23, 0
	s_mul_hi_u32 s6, s5, s6
	v_dual_mov_b32 v32, 0 :: v_dual_mov_b32 v21, 0
	s_add_i32 s5, s5, s6
	v_dual_mov_b32 v24, 0 :: v_dual_mov_b32 v19, 0
	s_mul_hi_u32 s5, s7, s5
	v_dual_mov_b32 v22, 0 :: v_dual_mov_b32 v17, 0
	s_mul_i32 s4, s5, s3
	s_add_i32 s6, s5, 1
	s_sub_i32 s4, s7, s4
	v_dual_mov_b32 v20, 0 :: v_dual_mov_b32 v63, 0
	s_sub_i32 s7, s4, s3
	s_cmp_ge_u32 s4, s3
	v_dual_mov_b32 v18, 0 :: v_dual_mov_b32 v65, 0
	s_cselect_b32 s5, s6, s5
	s_cselect_b32 s4, s7, s4
	s_add_i32 s6, s5, 1
	s_cmp_ge_u32 s4, s3
	v_dual_mov_b32 v60, 0 :: v_dual_mov_b32 v61, 0
	s_cselect_b32 s3, s6, s5
	s_abs_i32 s12, s15
	s_xor_b32 s3, s3, s2
	v_dual_mov_b32 v50, 0 :: v_dual_mov_b32 v49, 0
	s_sub_i32 s2, s3, s2
	v_mov_b32_e32 v68, 0
	s_abs_i32 s3, s2
	s_xor_b32 s2, s15, s2
	v_cvt_f32_u32_e32 v1, s3
	s_sub_i32 s5, 0, s3
	s_ashr_i32 s2, s2, 31
	v_mov_b32_e32 v64, 0
	v_mov_b32_e32 v66, 0
	v_rcp_iflag_f32_e32 v1, v1
	v_dual_mov_b32 v62, 0 :: v_dual_mov_b32 v53, 0
	v_dual_mov_b32 v57, 0 :: v_dual_mov_b32 v54, 0
	v_mov_b32_e32 v37, 0
	s_waitcnt_depctr 0xfff
	v_mul_f32_e32 v1, 0x4f7ffffe, v1
	s_delay_alu instid0(VALU_DEP_1) | instskip(NEXT) | instid1(VALU_DEP_1)
	v_cvt_u32_f32_e32 v1, v1
	v_readfirstlane_b32 s4, v1
	v_lshlrev_b32_e32 v1, 3, v0
	v_lshlrev_b32_e32 v0, 2, v0
	s_delay_alu instid0(VALU_DEP_3) | instskip(NEXT) | instid1(VALU_DEP_2)
	s_mul_i32 s5, s5, s4
	v_and_b32_e32 v71, 8, v1
	s_mul_hi_u32 s5, s4, s5
	s_delay_alu instid0(SALU_CYCLE_1)
	s_add_i32 s13, s4, s5
	s_load_b256 s[4:11], s[0:1], 0x260
	s_mul_hi_u32 s13, s12, s13
	v_mul_lo_u32 v73, s35, v71
	s_mul_i32 s14, s13, s3
	v_or_b32_e32 v33, 16, v71
	s_sub_i32 s12, s12, s14
	s_add_i32 s14, s13, 1
	s_sub_i32 s16, s12, s3
	s_cmp_ge_u32 s12, s3
	v_mul_lo_u32 v104, s35, v33
	s_cselect_b32 s13, s14, s13
	s_cselect_b32 s12, s16, s12
	s_load_b256 s[16:23], s[0:1], 0x0
	s_add_i32 s14, s13, 1
	s_cmp_ge_u32 s12, s3
	v_lshl_or_b32 v84, v71, 9, v84
	s_cselect_b32 s3, s14, s13
	s_delay_alu instid0(SALU_CYCLE_1) | instskip(NEXT) | instid1(SALU_CYCLE_1)
	s_xor_b32 s3, s3, s2
	s_sub_i32 s14, s3, s2
	s_delay_alu instid0(SALU_CYCLE_1)
	s_ashr_i32 s3, s14, 31
	s_waitcnt lgkmcnt(0)
	s_mul_hi_u32 s13, s4, s14
	s_mul_i32 s2, s4, s14
	s_mul_hi_u32 s26, s8, s14
	s_mul_i32 s4, s4, s3
	s_mul_i32 s27, s6, s3
	;; [unrolled: 1-line block ×4, first 2 shown]
	s_mul_hi_u32 s24, s6, s14
	s_mul_i32 s9, s9, s14
	s_add_i32 s4, s13, s4
	s_add_i32 s13, s26, s3
	s_mul_hi_u32 s25, s10, s14
	s_mul_i32 s5, s5, s14
	s_mul_i32 s7, s7, s14
	;; [unrolled: 1-line block ×3, first 2 shown]
	s_add_i32 s8, s24, s27
	s_add_i32 s13, s13, s9
	s_mul_i32 s11, s11, s14
	s_add_i32 s24, s25, s28
	s_add_i32 s3, s4, s5
	;; [unrolled: 1-line block ×3, first 2 shown]
	s_lshl_b64 s[8:9], s[12:13], 2
	s_add_i32 s7, s24, s11
	s_add_u32 s28, s20, s8
	s_addc_u32 s29, s21, s9
	s_lshl_b64 s[2:3], s[2:3], 2
	s_mul_i32 s4, s6, s14
	s_add_u32 s24, s16, s2
	s_addc_u32 s25, s17, s3
	s_lshl_b64 s[2:3], s[4:5], 2
	s_mul_i32 s6, s10, s14
	s_add_u32 s36, s18, s2
	s_addc_u32 s37, s19, s3
	s_lshl_b64 s[2:3], s[6:7], 2
	s_mul_hi_u32 s4, s47, s15
	s_add_u32 s12, s22, s2
	s_addc_u32 s13, s23, s3
	s_add_i32 s2, s15, s4
	s_load_b128 s[4:7], s[0:1], 0x220
	s_lshr_b32 s14, s2, s43
	s_clause 0x5
	s_load_b32 s16, s[0:1], 0x78
	s_load_b32 s38, s[0:1], 0x80
	;; [unrolled: 1-line block ×6, first 2 shown]
	s_mul_hi_u32 s2, s14, s46
	s_mov_b32 s27, 0x31004000
	s_add_i32 s2, s14, s2
	s_delay_alu instid0(SALU_CYCLE_1) | instskip(SKIP_2) | instid1(SALU_CYCLE_1)
	s_lshr_b32 s26, s2, s42
	s_load_b32 s2, s[0:1], 0x204
	s_mul_hi_u32 s3, s26, s45
	s_add_i32 s3, s26, s3
	s_delay_alu instid0(SALU_CYCLE_1)
	s_lshr_b32 s39, s3, s41
	s_clause 0x5
	s_load_b32 s41, s[0:1], 0xe8
	s_load_b32 s42, s[0:1], 0xf8
	;; [unrolled: 1-line block ×6, first 2 shown]
	s_mul_hi_u32 s3, s39, s44
	s_load_b32 s44, s[0:1], 0x214
	s_add_i32 s3, s39, s3
	s_delay_alu instid0(SALU_CYCLE_1)
	s_lshr_b32 s3, s3, s40
	s_waitcnt lgkmcnt(0)
	v_mul_hi_u32 v1, v73, s34
	s_mul_i32 s3, s3, s4
	s_mul_i32 s4, s26, s6
	s_sub_i32 s3, s39, s3
	s_sub_i32 s4, s14, s4
	s_load_b32 s6, s[0:1], 0x70
	s_mul_i32 s39, s39, s5
	s_mul_i32 s14, s14, s7
	s_mul_i32 s3, s3, s2
	v_add_nc_u32_e32 v1, v73, v1
	s_add_i32 s4, s4, s3
	s_load_b64 s[2:3], s[0:1], 0x60
	s_lshl_b32 s11, s4, 7
	s_lshl_b32 s4, s35, 2
	v_or_b32_e32 v79, s11, v43
	v_add_nc_u32_e32 v85, s4, v73
	v_lshrrev_b32_e32 v3, s33, v1
	s_sub_i32 s5, s26, s39
	v_mul_lo_u32 v13, s31, v71
	v_mul_hi_u32 v2, v79, s16
	v_mul_hi_u32 v4, v85, s34
	s_load_b256 s[16:23], s[0:1], 0x34
	s_waitcnt lgkmcnt(0)
	s_load_b32 s19, s[0:1], 0xb4
	s_mul_i32 s5, s5, s44
	s_mov_b32 s39, s27
	s_lshl_b32 s26, s41, 2
	v_mul_hi_u32 v42, v104, s34
	v_add_nc_u32_e32 v1, v79, v2
	v_mul_lo_u32 v2, v3, s9
	v_dual_mov_b32 v33, 0 :: v_dual_add_nc_u32 v4, v85, v4
	v_add_nc_u32_e32 v87, s4, v104
	s_delay_alu instid0(VALU_DEP_4) | instskip(SKIP_1) | instid1(VALU_DEP_4)
	v_lshrrev_b32_e32 v5, s38, v1
	v_mul_lo_u32 v1, v3, s2
	v_lshrrev_b32_e32 v74, s33, v4
	s_lshl_b32 s38, s43, 2
	v_sub_nc_u32_e32 v4, v73, v2
	v_mul_lo_u32 v6, v5, s6
	s_sub_i32 s6, s15, s14
	v_sub_nc_u32_e32 v3, v74, v3
	s_add_i32 s6, s6, s5
	s_lshl_b32 s15, s31, 2
	s_lshl_b32 s14, s6, 7
	v_mul_lo_u32 v5, v5, s16
	v_or_b32_e32 v92, s14, v43
	v_sub_nc_u32_e32 v2, v79, v6
	v_mul_lo_u32 v6, v74, s9
	v_mul_lo_u32 v93, v3, s2
	v_dual_mov_b32 v43, 0 :: v_dual_add_nc_u32 v42, v104, v42
	s_delay_alu instid0(VALU_DEP_4) | instskip(SKIP_2) | instid1(VALU_DEP_3)
	v_mad_u64_u32 v[14:15], null, v2, s3, v[1:2]
	s_waitcnt lgkmcnt(0)
	v_cmp_gt_i32_e64 s3, s19, v73
	v_lshrrev_b32_e32 v86, s33, v42
	v_sub_nc_u32_e32 v15, v85, v6
	v_mul_lo_u32 v6, v4, s18
	v_mul_lo_u32 v9, v93, s17
	v_mov_b32_e32 v42, 0
	v_mad_u64_u32 v[1:2], null, v92, s42, v[13:14]
	v_subrev_nc_u32_e32 v2, s21, v14
	v_sub_nc_u32_e32 v3, v15, v4
	v_sub_nc_u32_e32 v82, v83, v82
	;; [unrolled: 1-line block ×3, first 2 shown]
	v_mul_hi_u32 v83, v87, s34
	v_mul_lo_u32 v7, v2, s17
	v_lshlrev_b32_e32 v4, 2, v1
	v_add_nc_u32_e32 v96, s15, v1
	v_mul_lo_u32 v10, v3, s18
	v_mul_lo_u32 v94, v86, s9
	v_lshl_add_u32 v81, v80, 3, v81
	buffer_load_b128 v[1:4], v4, s[36:39], 0 offen
	v_lshlrev_b32_e32 v8, 2, v96
	v_add3_u32 v11, v5, v6, v7
	v_add_nc_u32_e32 v71, v87, v83
	v_and_or_b32 v80, v0, 4, v82
	v_cmp_gt_i32_e64 s4, s30, v13
	buffer_load_b128 v[5:8], v8, s[36:39], 0 offen
	v_add3_u32 v97, v10, v9, v11
	v_lshlrev_b32_e32 v9, 2, v11
	v_sub_nc_u32_e32 v0, v104, v94
	v_lshrrev_b32_e32 v71, s33, v71
	v_add_nc_u32_e32 v105, s15, v13
	v_lshlrev_b32_e32 v16, 2, v97
	s_clause 0x1
	buffer_load_b128 v[9:12], v9, s[24:27], 0 offen
	buffer_load_b128 v[88:91], v16, s[24:27], 0 offen
	v_sub_nc_u32_e32 v13, v86, v74
	s_sub_i32 s16, s20, s22
	v_cmp_le_i32_e64 s7, s21, v14
	v_add_nc_u32_e32 v107, v14, v93
	v_cmp_gt_i32_e32 vcc_lo, s10, v92
	v_mul_lo_u32 v106, v13, s2
	v_cmp_gt_i32_e64 s6, s30, v105
	v_cmp_gt_i32_e64 s5, s19, v85
	;; [unrolled: 1-line block ×3, first 2 shown]
	v_sub_nc_u32_e32 v15, v0, v15
	v_lshlrev_b32_e32 v82, 2, v81
	v_lshlrev_b32_e32 v83, 2, v80
	s_mul_i32 s31, s31, 12
	v_mov_b32_e32 v16, 0
	v_mul_lo_u32 v15, v15, s18
	v_add_nc_u32_e32 v85, s31, v105
	s_waitcnt vmcnt(3)
	v_mad_u64_u32 v[73:74], null, v71, s9, v[0:1]
	v_sub_nc_u32_e32 v71, v71, v86
	v_cmp_le_i32_e64 s9, s21, v107
	v_mov_b32_e32 v74, 0
	s_delay_alu instid0(VALU_DEP_3)
	v_mul_lo_u32 v86, v71, s2
	v_cmp_gt_i32_e64 s2, s8, v79
	v_cmp_gt_i32_e64 s8, s16, v14
	v_mul_lo_u32 v14, v106, s17
	v_sub_nc_u32_e32 v13, v87, v73
	v_mov_b32_e32 v71, 0
	v_mov_b32_e32 v73, 0
	s_and_b32 s7, s7, s8
	v_mul_lo_u32 v0, v86, s17
	s_and_b32 s7, s3, s7
	s_and_b32 s3, s4, vcc_lo
	s_and_b32 s8, s9, s10
	v_cndmask_b32_e64 v4, 0, v4, s3
	v_cndmask_b32_e64 v3, 0, v3, s3
	v_cndmask_b32_e64 v2, 0, v2, s3
	v_cndmask_b32_e64 v1, 0, v1, s3
	s_and_b32 s3, s6, vcc_lo
	s_and_b32 s4, s5, s8
	s_waitcnt vmcnt(2)
	v_cndmask_b32_e64 v6, 0, v6, s3
	v_cndmask_b32_e64 v5, 0, v5, s3
	;; [unrolled: 1-line block ×4, first 2 shown]
	s_and_b32 s3, s2, s7
	ds_store_2addr_stride64_b32 v84, v1, v2 offset0:64 offset1:66
	ds_store_2addr_stride64_b32 v84, v3, v4 offset0:68 offset1:70
	;; [unrolled: 1-line block ×3, first 2 shown]
	s_waitcnt vmcnt(1)
	v_cndmask_b32_e64 v1, 0, v12, s3
	v_cndmask_b32_e64 v2, 0, v11, s3
	;; [unrolled: 1-line block ×4, first 2 shown]
	s_and_b32 s3, s2, s4
	v_mov_b32_e32 v79, 0
	s_waitcnt vmcnt(0)
	v_cndmask_b32_e64 v6, 0, v89, s3
	v_cndmask_b32_e64 v9, 0, v88, s3
	;; [unrolled: 1-line block ×4, first 2 shown]
	ds_store_2addr_stride64_b32 v84, v7, v8 offset0:76 offset1:78
	ds_store_2addr_stride64_b32 v84, v4, v3 offset1:2
	ds_store_2addr_stride64_b32 v84, v2, v1 offset0:4 offset1:6
	ds_store_2addr_stride64_b32 v84, v9, v6 offset0:8 offset1:10
	;; [unrolled: 1-line block ×3, first 2 shown]
	v_mad_u64_u32 v[1:2], null, v13, s18, v[0:1]
	v_add3_u32 v0, v15, v14, v97
	v_add_nc_u32_e32 v2, s31, v96
	s_waitcnt lgkmcnt(0)
	s_barrier
	ds_load_b128 v[88:91], v82
	ds_load_b128 v[92:95], v83 offset:16384
	v_lshlrev_b32_e32 v3, 2, v0
	v_add_lshl_u32 v0, v1, v0, 2
	s_clause 0x1
	buffer_load_b128 v[12:15], v3, s[24:27], 0 offen
	buffer_load_b128 v[8:11], v0, s[24:27], 0 offen
	v_lshlrev_b32_e32 v1, 2, v2
	v_add_lshl_u32 v2, v2, s15, 2
	ds_load_b128 v[96:99], v83 offset:16640
	s_clause 0x1
	buffer_load_b128 v[4:7], v1, s[36:39], 0 offen
	buffer_load_b128 v[0:3], v2, s[36:39], 0 offen
	v_cmp_gt_i32_e64 s3, s19, v104
	v_add_nc_u32_e32 v104, v107, v106
	ds_load_b128 v[100:103], v82 offset:256
	s_waitcnt lgkmcnt(2)
	;;#ASMSTART
	
             v_fmac_f32 v68, v88, v92 
             
	;;#ASMEND
	;;#ASMSTART
	
             v_fmac_f32 v64, v88, v93 
             
	;;#ASMEND
	;; [unrolled: 5-line block ×16, first 2 shown]
	s_waitcnt lgkmcnt(1)
	;;#ASMSTART
	
             v_fmac_f32 v78, v88, v96 
             
	;;#ASMEND
	;;#ASMSTART
	
             v_fmac_f32 v77, v88, v97 
             
	;;#ASMEND
	;; [unrolled: 5-line block ×16, first 2 shown]
	ds_load_b128 v[88:91], v82 offset:512
	s_waitcnt lgkmcnt(1)
	;;#ASMSTART
	
             v_fmac_f32 v45, v100, v92 
             
	;;#ASMEND
	;;#ASMSTART
	
             v_fmac_f32 v47, v100, v93 
             
	;;#ASMEND
	;; [unrolled: 5-line block ×16, first 2 shown]
	ds_load_b128 v[92:95], v83 offset:16896
	;;#ASMSTART
	
             v_fmac_f32 v63, v100, v96 
             
	;;#ASMEND
	;;#ASMSTART
	
             v_fmac_f32 v65, v100, v97 
             
	;;#ASMEND
	;; [unrolled: 5-line block ×16, first 2 shown]
	ds_load_b128 v[96:99], v83 offset:17152
	ds_load_b128 v[100:103], v82 offset:768
	s_waitcnt lgkmcnt(2)
	;;#ASMSTART
	
             v_fmac_f32 v68, v88, v92 
             
	;;#ASMEND
	;;#ASMSTART
	
             v_fmac_f32 v64, v88, v93 
             
	;;#ASMEND
	;;#ASMSTART
	
             v_fmac_f32 v66, v88, v94 
             
	;;#ASMEND
	;;#ASMSTART
	
             v_fmac_f32 v62, v88, v95 
             
	;;#ASMEND
	;;#ASMSTART
	
             v_fmac_f32 v53, v89, v92 
             
	;;#ASMEND
	;;#ASMSTART
	
             v_fmac_f32 v57, v89, v93 
             
	;;#ASMEND
	;;#ASMSTART
	
             v_fmac_f32 v54, v89, v94 
             
	;;#ASMEND
	;;#ASMSTART
	
             v_fmac_f32 v52, v89, v95 
             
	;;#ASMEND
	;;#ASMSTART
	
             v_fmac_f32 v38, v90, v92 
             
	;;#ASMEND
	;;#ASMSTART
	
             v_fmac_f32 v40, v90, v93 
             
	;;#ASMEND
	;;#ASMSTART
	
             v_fmac_f32 v44, v90, v94 
             
	;;#ASMEND
	;;#ASMSTART
	
             v_fmac_f32 v37, v90, v95 
             
	;;#ASMEND
	;;#ASMSTART
	
             v_fmac_f32 v28, v91, v92 
             
	;;#ASMEND
	;;#ASMSTART
	
             v_fmac_f32 v26, v91, v93 
             
	;;#ASMEND
	;;#ASMSTART
	
             v_fmac_f32 v27, v91, v94 
             
	;;#ASMEND
	;;#ASMSTART
	
             v_fmac_f32 v25, v91, v95 
             
	;;#ASMEND
	s_waitcnt lgkmcnt(1)
	;;#ASMSTART
	
             v_fmac_f32 v78, v88, v96 
             
	;;#ASMEND
	;;#ASMSTART
	
             v_fmac_f32 v77, v88, v97 
             
	;;#ASMEND
	;; [unrolled: 5-line block ×16, first 2 shown]
	ds_load_b128 v[88:91], v82 offset:1024
	s_waitcnt lgkmcnt(1)
	;;#ASMSTART
	
             v_fmac_f32 v45, v100, v92 
             
	;;#ASMEND
	;;#ASMSTART
	
             v_fmac_f32 v47, v100, v93 
             
	;;#ASMEND
	;;#ASMSTART
	
             v_fmac_f32 v41, v100, v94 
             
	;;#ASMEND
	;;#ASMSTART
	
             v_fmac_f32 v36, v100, v95 
             
	;;#ASMEND
	;;#ASMSTART
	
             v_fmac_f32 v30, v101, v92 
             
	;;#ASMEND
	;;#ASMSTART
	
             v_fmac_f32 v31, v101, v93 
             
	;;#ASMEND
	;;#ASMSTART
	
             v_fmac_f32 v32, v101, v94 
             
	;;#ASMEND
	;;#ASMSTART
	
             v_fmac_f32 v29, v101, v95 
             
	;;#ASMEND
	;;#ASMSTART
	
             v_fmac_f32 v24, v102, v92 
             
	;;#ASMEND
	;;#ASMSTART
	
             v_fmac_f32 v22, v102, v93 
             
	;;#ASMEND
	;;#ASMSTART
	
             v_fmac_f32 v23, v102, v94 
             
	;;#ASMEND
	;;#ASMSTART
	
             v_fmac_f32 v21, v102, v95 
             
	;;#ASMEND
	;;#ASMSTART
	
             v_fmac_f32 v19, v103, v92 
             
	;;#ASMEND
	;;#ASMSTART
	
             v_fmac_f32 v20, v103, v93 
             
	;;#ASMEND
	;;#ASMSTART
	
             v_fmac_f32 v17, v103, v94 
             
	;;#ASMEND
	;;#ASMSTART
	
             v_fmac_f32 v18, v103, v95 
             
	;;#ASMEND
	ds_load_b128 v[92:95], v83 offset:17408
	;;#ASMSTART
	
             v_fmac_f32 v63, v100, v96 
             
	;;#ASMEND
	;;#ASMSTART
	
             v_fmac_f32 v65, v100, v97 
             
	;;#ASMEND
	;; [unrolled: 5-line block ×16, first 2 shown]
	ds_load_b128 v[96:99], v83 offset:17664
	ds_load_b128 v[100:103], v82 offset:1280
	s_waitcnt lgkmcnt(2)
	;;#ASMSTART
	
             v_fmac_f32 v68, v88, v92 
             
	;;#ASMEND
	;;#ASMSTART
	
             v_fmac_f32 v64, v88, v93 
             
	;;#ASMEND
	;; [unrolled: 5-line block ×16, first 2 shown]
	s_waitcnt lgkmcnt(1)
	;;#ASMSTART
	
             v_fmac_f32 v78, v88, v96 
             
	;;#ASMEND
	;;#ASMSTART
	
             v_fmac_f32 v77, v88, v97 
             
	;;#ASMEND
	;; [unrolled: 5-line block ×16, first 2 shown]
	ds_load_b128 v[88:91], v82 offset:1536
	s_waitcnt lgkmcnt(1)
	;;#ASMSTART
	
             v_fmac_f32 v45, v100, v92 
             
	;;#ASMEND
	;;#ASMSTART
	
             v_fmac_f32 v47, v100, v93 
             
	;;#ASMEND
	;; [unrolled: 5-line block ×16, first 2 shown]
	ds_load_b128 v[92:95], v83 offset:17920
	;;#ASMSTART
	
             v_fmac_f32 v63, v100, v96 
             
	;;#ASMEND
	;;#ASMSTART
	
             v_fmac_f32 v65, v100, v97 
             
	;;#ASMEND
	;; [unrolled: 5-line block ×16, first 2 shown]
	ds_load_b128 v[96:99], v83 offset:18176
	ds_load_b128 v[100:103], v82 offset:1792
	v_cmp_gt_i32_e64 s4, s19, v87
	s_waitcnt lgkmcnt(2)
	;;#ASMSTART
	
             v_fmac_f32 v68, v88, v92 
             
	;;#ASMEND
	;;#ASMSTART
	
             v_fmac_f32 v64, v88, v93 
             
	;;#ASMEND
	;;#ASMSTART
	
             v_fmac_f32 v66, v88, v94 
             
	;;#ASMEND
	;;#ASMSTART
	
             v_fmac_f32 v62, v88, v95 
             
	;;#ASMEND
	;;#ASMSTART
	
             v_fmac_f32 v53, v89, v92 
             
	;;#ASMEND
	;;#ASMSTART
	
             v_fmac_f32 v57, v89, v93 
             
	;;#ASMEND
	;;#ASMSTART
	
             v_fmac_f32 v54, v89, v94 
             
	;;#ASMEND
	;;#ASMSTART
	
             v_fmac_f32 v52, v89, v95 
             
	;;#ASMEND
	;;#ASMSTART
	
             v_fmac_f32 v38, v90, v92 
             
	;;#ASMEND
	;;#ASMSTART
	
             v_fmac_f32 v40, v90, v93 
             
	;;#ASMEND
	;;#ASMSTART
	
             v_fmac_f32 v44, v90, v94 
             
	;;#ASMEND
	;;#ASMSTART
	
             v_fmac_f32 v37, v90, v95 
             
	;;#ASMEND
	;;#ASMSTART
	
             v_fmac_f32 v28, v91, v92 
             
	;;#ASMEND
	;;#ASMSTART
	
             v_fmac_f32 v26, v91, v93 
             
	;;#ASMEND
	;;#ASMSTART
	
             v_fmac_f32 v27, v91, v94 
             
	;;#ASMEND
	;;#ASMSTART
	
             v_fmac_f32 v25, v91, v95 
             
	;;#ASMEND
	s_waitcnt lgkmcnt(1)
	;;#ASMSTART
	
             v_fmac_f32 v78, v88, v96 
             
	;;#ASMEND
	;;#ASMSTART
	
             v_fmac_f32 v77, v88, v97 
             
	;;#ASMEND
	;;#ASMSTART
	
             v_fmac_f32 v75, v88, v98 
             
	;;#ASMEND
	;;#ASMSTART
	
             v_fmac_f32 v76, v88, v99 
             
	;;#ASMEND
	;;#ASMSTART
	
             v_fmac_f32 v70, v89, v96 
             
	;;#ASMEND
	;;#ASMSTART
	
             v_fmac_f32 v72, v89, v97 
             
	;;#ASMEND
	;;#ASMSTART
	
             v_fmac_f32 v67, v89, v98 
             
	;;#ASMEND
	;;#ASMSTART
	
             v_fmac_f32 v69, v89, v99 
             
	;;#ASMEND
	;;#ASMSTART
	
             v_fmac_f32 v58, v90, v96 
             
	;;#ASMEND
	;;#ASMSTART
	
             v_fmac_f32 v59, v90, v97 
             
	;;#ASMEND
	;;#ASMSTART
	
             v_fmac_f32 v55, v90, v98 
             
	;;#ASMEND
	;;#ASMSTART
	
             v_fmac_f32 v56, v90, v99 
             
	;;#ASMEND
	;;#ASMSTART
	
             v_fmac_f32 v46, v91, v96 
             
	;;#ASMEND
	;;#ASMSTART
	
             v_fmac_f32 v39, v91, v97 
             
	;;#ASMEND
	;;#ASMSTART
	
             v_fmac_f32 v34, v91, v98 
             
	;;#ASMEND
	;;#ASMSTART
	
             v_fmac_f32 v35, v91, v99 
             
	;;#ASMEND
	ds_load_b128 v[87:90], v82 offset:2048
	s_waitcnt lgkmcnt(1)
	;;#ASMSTART
	
             v_fmac_f32 v45, v100, v92 
             
	;;#ASMEND
	;;#ASMSTART
	
             v_fmac_f32 v47, v100, v93 
             
	;;#ASMEND
	;; [unrolled: 5-line block ×16, first 2 shown]
	ds_load_b128 v[91:94], v83 offset:18432
	;;#ASMSTART
	
             v_fmac_f32 v63, v100, v96 
             
	;;#ASMEND
	;;#ASMSTART
	
             v_fmac_f32 v65, v100, v97 
             
	;;#ASMEND
	;; [unrolled: 5-line block ×16, first 2 shown]
	v_add_nc_u32_e32 v103, v104, v86
	v_cmp_le_i32_e64 s5, s21, v104
	v_cmp_gt_i32_e64 s6, s16, v104
	ds_load_b128 v[95:98], v83 offset:18688
	ds_load_b128 v[99:102], v82 offset:2304
	v_cmp_le_i32_e64 s7, s21, v103
	v_cmp_gt_i32_e64 s8, s16, v103
	s_and_b32 s5, s5, s6
	s_waitcnt lgkmcnt(2)
	;;#ASMSTART
	
             v_fmac_f32 v68, v87, v91 
             
	;;#ASMEND
	s_and_b32 s3, s3, s5
	;;#ASMSTART
	
             v_fmac_f32 v64, v87, v92 
             
	;;#ASMEND
	s_and_b32 s6, s7, s8
	s_and_b32 s3, s2, s3
	;; [unrolled: 1-line block ×3, first 2 shown]
	;;#ASMSTART
	
             v_fmac_f32 v66, v87, v93 
             
	;;#ASMEND
	s_and_b32 s2, s2, s4
	;;#ASMSTART
	
             v_fmac_f32 v62, v87, v94 
             
	;;#ASMEND
	;;#ASMSTART
	
             v_fmac_f32 v53, v88, v91 
             
	;;#ASMEND
	;; [unrolled: 5-line block ×13, first 2 shown]
	s_waitcnt lgkmcnt(1)
	;;#ASMSTART
	
             v_fmac_f32 v78, v87, v95 
             
	;;#ASMEND
	;;#ASMSTART
	
             v_fmac_f32 v77, v87, v96 
             
	;;#ASMEND
	;; [unrolled: 5-line block ×6, first 2 shown]
	s_waitcnt vmcnt(2)
	v_cndmask_b32_e64 v11, 0, v11, s2
	v_cndmask_b32_e64 v10, 0, v10, s2
	;; [unrolled: 1-line block ×4, first 2 shown]
	v_cmp_gt_i32_e64 s2, s30, v85
	;;#ASMSTART
	
             v_fmac_f32 v67, v88, v97 
             
	;;#ASMEND
	;;#ASMSTART
	
             v_fmac_f32 v69, v88, v98 
             
	;;#ASMEND
	;; [unrolled: 5-line block ×10, first 2 shown]
	ds_load_b128 v[86:89], v82 offset:2560
	s_waitcnt lgkmcnt(1)
	;;#ASMSTART
	
             v_fmac_f32 v45, v99, v91 
             
	;;#ASMEND
	;;#ASMSTART
	
             v_fmac_f32 v47, v99, v92 
             
	;;#ASMEND
	;; [unrolled: 5-line block ×16, first 2 shown]
	ds_load_b128 v[90:93], v83 offset:18944
	;;#ASMSTART
	
             v_fmac_f32 v63, v99, v95 
             
	;;#ASMEND
	;;#ASMSTART
	
             v_fmac_f32 v65, v99, v96 
             
	;;#ASMEND
	;;#ASMSTART
	
             v_fmac_f32 v60, v99, v97 
             
	;;#ASMEND
	;;#ASMSTART
	
             v_fmac_f32 v61, v99, v98 
             
	;;#ASMEND
	;;#ASMSTART
	
             v_fmac_f32 v48, v100, v95 
             
	;;#ASMEND
	;;#ASMSTART
	
             v_fmac_f32 v50, v100, v96 
             
	;;#ASMEND
	;;#ASMSTART
	
             v_fmac_f32 v49, v100, v97 
             
	;;#ASMEND
	;;#ASMSTART
	
             v_fmac_f32 v51, v100, v98 
             
	;;#ASMEND
	;;#ASMSTART
	
             v_fmac_f32 v33, v101, v95 
             
	;;#ASMEND
	;;#ASMSTART
	
             v_fmac_f32 v42, v101, v96 
             
	;;#ASMEND
	;;#ASMSTART
	
             v_fmac_f32 v43, v101, v97 
             
	;;#ASMEND
	;;#ASMSTART
	
             v_fmac_f32 v79, v101, v98 
             
	;;#ASMEND
	;;#ASMSTART
	
             v_fmac_f32 v71, v102, v95 
             
	;;#ASMEND
	;;#ASMSTART
	
             v_fmac_f32 v73, v102, v96 
             
	;;#ASMEND
	;;#ASMSTART
	
             v_fmac_f32 v74, v102, v97 
             
	;;#ASMEND
	;;#ASMSTART
	
             v_fmac_f32 v16, v102, v98 
             
	;;#ASMEND
	v_add_nc_u32_e32 v102, s15, v85
	ds_load_b128 v[94:97], v83 offset:19200
	ds_load_b128 v[98:101], v82 offset:2816
	s_waitcnt lgkmcnt(2)
	;;#ASMSTART
	
             v_fmac_f32 v68, v86, v90 
             
	;;#ASMEND
	;;#ASMSTART
	
             v_fmac_f32 v64, v86, v91 
             
	;;#ASMEND
	;; [unrolled: 5-line block ×16, first 2 shown]
	s_waitcnt lgkmcnt(1)
	;;#ASMSTART
	
             v_fmac_f32 v78, v86, v94 
             
	;;#ASMEND
	;;#ASMSTART
	
             v_fmac_f32 v77, v86, v95 
             
	;;#ASMEND
	;; [unrolled: 5-line block ×16, first 2 shown]
	ds_load_b128 v[86:89], v82 offset:3072
	s_waitcnt lgkmcnt(1)
	;;#ASMSTART
	
             v_fmac_f32 v45, v98, v90 
             
	;;#ASMEND
	;;#ASMSTART
	
             v_fmac_f32 v47, v98, v91 
             
	;;#ASMEND
	;; [unrolled: 5-line block ×16, first 2 shown]
	ds_load_b128 v[90:93], v83 offset:19456
	;;#ASMSTART
	
             v_fmac_f32 v63, v98, v94 
             
	;;#ASMEND
	;;#ASMSTART
	
             v_fmac_f32 v65, v98, v95 
             
	;;#ASMEND
	;; [unrolled: 5-line block ×16, first 2 shown]
	ds_load_b128 v[94:97], v83 offset:19712
	ds_load_b128 v[98:101], v82 offset:3328
	s_and_b32 s2, s2, vcc_lo
	s_waitcnt lgkmcnt(2)
	;;#ASMSTART
	
             v_fmac_f32 v68, v86, v90 
             
	;;#ASMEND
	;;#ASMSTART
	
             v_fmac_f32 v64, v86, v91 
             
	;;#ASMEND
	;; [unrolled: 5-line block ×16, first 2 shown]
	s_waitcnt lgkmcnt(1)
	;;#ASMSTART
	
             v_fmac_f32 v78, v86, v94 
             
	;;#ASMEND
	;;#ASMSTART
	
             v_fmac_f32 v77, v86, v95 
             
	;;#ASMEND
	;;#ASMSTART
	
             v_fmac_f32 v75, v86, v96 
             
	;;#ASMEND
	;;#ASMSTART
	
             v_fmac_f32 v76, v86, v97 
             
	;;#ASMEND
	;;#ASMSTART
	
             v_fmac_f32 v70, v87, v94 
             
	;;#ASMEND
	;;#ASMSTART
	
             v_fmac_f32 v72, v87, v95 
             
	;;#ASMEND
	;;#ASMSTART
	
             v_fmac_f32 v67, v87, v96 
             
	;;#ASMEND
	;;#ASMSTART
	
             v_fmac_f32 v69, v87, v97 
             
	;;#ASMEND
	;;#ASMSTART
	
             v_fmac_f32 v58, v88, v94 
             
	;;#ASMEND
	;;#ASMSTART
	
             v_fmac_f32 v59, v88, v95 
             
	;;#ASMEND
	;;#ASMSTART
	
             v_fmac_f32 v55, v88, v96 
             
	;;#ASMEND
	;;#ASMSTART
	
             v_fmac_f32 v56, v88, v97 
             
	;;#ASMEND
	;;#ASMSTART
	
             v_fmac_f32 v46, v89, v94 
             
	;;#ASMEND
	;;#ASMSTART
	
             v_fmac_f32 v39, v89, v95 
             
	;;#ASMEND
	;;#ASMSTART
	
             v_fmac_f32 v34, v89, v96 
             
	;;#ASMEND
	;;#ASMSTART
	
             v_fmac_f32 v35, v89, v97 
             
	;;#ASMEND
	ds_load_b128 v[86:89], v82 offset:3584
	s_waitcnt lgkmcnt(1)
	;;#ASMSTART
	
             v_fmac_f32 v45, v98, v90 
             
	;;#ASMEND
	;;#ASMSTART
	
             v_fmac_f32 v47, v98, v91 
             
	;;#ASMEND
	;; [unrolled: 5-line block ×16, first 2 shown]
	ds_load_b128 v[90:93], v83 offset:19968
	;;#ASMSTART
	
             v_fmac_f32 v63, v98, v94 
             
	;;#ASMEND
	;;#ASMSTART
	
             v_fmac_f32 v65, v98, v95 
             
	;;#ASMEND
	;; [unrolled: 5-line block ×16, first 2 shown]
	ds_load_b128 v[94:97], v83 offset:20224
	ds_load_b128 v[98:101], v82 offset:3840
	s_waitcnt lgkmcnt(2)
	;;#ASMSTART
	
             v_fmac_f32 v68, v86, v90 
             
	;;#ASMEND
	;;#ASMSTART
	
             v_fmac_f32 v64, v86, v91 
             
	;;#ASMEND
	;; [unrolled: 5-line block ×16, first 2 shown]
	s_waitcnt lgkmcnt(1)
	;;#ASMSTART
	
             v_fmac_f32 v78, v86, v94 
             
	;;#ASMEND
	;;#ASMSTART
	
             v_fmac_f32 v77, v86, v95 
             
	;;#ASMEND
	;; [unrolled: 5-line block ×16, first 2 shown]
	ds_load_b128 v[86:89], v82 offset:4096
	s_waitcnt lgkmcnt(1)
	;;#ASMSTART
	
             v_fmac_f32 v45, v98, v90 
             
	;;#ASMEND
	;;#ASMSTART
	
             v_fmac_f32 v47, v98, v91 
             
	;;#ASMEND
	;; [unrolled: 5-line block ×16, first 2 shown]
	ds_load_b128 v[90:93], v83 offset:20480
	;;#ASMSTART
	
             v_fmac_f32 v63, v98, v94 
             
	;;#ASMEND
	;;#ASMSTART
	
             v_fmac_f32 v65, v98, v95 
             
	;;#ASMEND
	;; [unrolled: 5-line block ×16, first 2 shown]
	ds_load_b128 v[94:97], v83 offset:20736
	ds_load_b128 v[98:101], v82 offset:4352
	s_waitcnt vmcnt(1)
	v_cndmask_b32_e64 v7, 0, v7, s2
	v_cndmask_b32_e64 v6, 0, v6, s2
	;; [unrolled: 1-line block ×4, first 2 shown]
	v_cmp_gt_i32_e64 s2, s30, v102
	s_waitcnt lgkmcnt(2)
	;;#ASMSTART
	
             v_fmac_f32 v68, v86, v90 
             
	;;#ASMEND
	;;#ASMSTART
	
             v_fmac_f32 v64, v86, v91 
             
	;;#ASMEND
	;; [unrolled: 5-line block ×16, first 2 shown]
	s_waitcnt lgkmcnt(1)
	;;#ASMSTART
	
             v_fmac_f32 v78, v86, v94 
             
	;;#ASMEND
	;;#ASMSTART
	
             v_fmac_f32 v77, v86, v95 
             
	;;#ASMEND
	;; [unrolled: 5-line block ×16, first 2 shown]
	ds_load_b128 v[86:89], v82 offset:4608
	s_waitcnt lgkmcnt(1)
	;;#ASMSTART
	
             v_fmac_f32 v45, v98, v90 
             
	;;#ASMEND
	;;#ASMSTART
	
             v_fmac_f32 v47, v98, v91 
             
	;;#ASMEND
	;;#ASMSTART
	
             v_fmac_f32 v41, v98, v92 
             
	;;#ASMEND
	;;#ASMSTART
	
             v_fmac_f32 v36, v98, v93 
             
	;;#ASMEND
	;;#ASMSTART
	
             v_fmac_f32 v30, v99, v90 
             
	;;#ASMEND
	;;#ASMSTART
	
             v_fmac_f32 v31, v99, v91 
             
	;;#ASMEND
	;;#ASMSTART
	
             v_fmac_f32 v32, v99, v92 
             
	;;#ASMEND
	;;#ASMSTART
	
             v_fmac_f32 v29, v99, v93 
             
	;;#ASMEND
	;;#ASMSTART
	
             v_fmac_f32 v24, v100, v90 
             
	;;#ASMEND
	;;#ASMSTART
	
             v_fmac_f32 v22, v100, v91 
             
	;;#ASMEND
	;;#ASMSTART
	
             v_fmac_f32 v23, v100, v92 
             
	;;#ASMEND
	;;#ASMSTART
	
             v_fmac_f32 v21, v100, v93 
             
	;;#ASMEND
	;;#ASMSTART
	
             v_fmac_f32 v19, v101, v90 
             
	;;#ASMEND
	;;#ASMSTART
	
             v_fmac_f32 v20, v101, v91 
             
	;;#ASMEND
	;;#ASMSTART
	
             v_fmac_f32 v17, v101, v92 
             
	;;#ASMEND
	;;#ASMSTART
	
             v_fmac_f32 v18, v101, v93 
             
	;;#ASMEND
	ds_load_b128 v[90:93], v83 offset:20992
	;;#ASMSTART
	
             v_fmac_f32 v63, v98, v94 
             
	;;#ASMEND
	;;#ASMSTART
	
             v_fmac_f32 v65, v98, v95 
             
	;;#ASMEND
	;; [unrolled: 5-line block ×16, first 2 shown]
	ds_load_b128 v[94:97], v83 offset:21248
	ds_load_b128 v[98:101], v82 offset:4864
	s_waitcnt lgkmcnt(2)
	;;#ASMSTART
	
             v_fmac_f32 v68, v86, v90 
             
	;;#ASMEND
	;;#ASMSTART
	
             v_fmac_f32 v64, v86, v91 
             
	;;#ASMEND
	;; [unrolled: 5-line block ×16, first 2 shown]
	s_waitcnt lgkmcnt(1)
	;;#ASMSTART
	
             v_fmac_f32 v78, v86, v94 
             
	;;#ASMEND
	;;#ASMSTART
	
             v_fmac_f32 v77, v86, v95 
             
	;;#ASMEND
	;; [unrolled: 5-line block ×16, first 2 shown]
	ds_load_b128 v[86:89], v82 offset:5120
	s_waitcnt lgkmcnt(1)
	;;#ASMSTART
	
             v_fmac_f32 v45, v98, v90 
             
	;;#ASMEND
	;;#ASMSTART
	
             v_fmac_f32 v47, v98, v91 
             
	;;#ASMEND
	;; [unrolled: 5-line block ×16, first 2 shown]
	ds_load_b128 v[90:93], v83 offset:21504
	;;#ASMSTART
	
             v_fmac_f32 v63, v98, v94 
             
	;;#ASMEND
	;;#ASMSTART
	
             v_fmac_f32 v65, v98, v95 
             
	;;#ASMEND
	;;#ASMSTART
	
             v_fmac_f32 v60, v98, v96 
             
	;;#ASMEND
	;;#ASMSTART
	
             v_fmac_f32 v61, v98, v97 
             
	;;#ASMEND
	;;#ASMSTART
	
             v_fmac_f32 v48, v99, v94 
             
	;;#ASMEND
	;;#ASMSTART
	
             v_fmac_f32 v50, v99, v95 
             
	;;#ASMEND
	;;#ASMSTART
	
             v_fmac_f32 v49, v99, v96 
             
	;;#ASMEND
	;;#ASMSTART
	
             v_fmac_f32 v51, v99, v97 
             
	;;#ASMEND
	;;#ASMSTART
	
             v_fmac_f32 v33, v100, v94 
             
	;;#ASMEND
	;;#ASMSTART
	
             v_fmac_f32 v42, v100, v95 
             
	;;#ASMEND
	;;#ASMSTART
	
             v_fmac_f32 v43, v100, v96 
             
	;;#ASMEND
	;;#ASMSTART
	
             v_fmac_f32 v79, v100, v97 
             
	;;#ASMEND
	;;#ASMSTART
	
             v_fmac_f32 v71, v101, v94 
             
	;;#ASMEND
	;;#ASMSTART
	
             v_fmac_f32 v73, v101, v95 
             
	;;#ASMEND
	;;#ASMSTART
	
             v_fmac_f32 v74, v101, v96 
             
	;;#ASMEND
	;;#ASMSTART
	
             v_fmac_f32 v16, v101, v97 
             
	;;#ASMEND
	ds_load_b128 v[94:97], v83 offset:21760
	ds_load_b128 v[98:101], v82 offset:5376
	v_cndmask_b32_e64 v13, 0, v13, s3
	v_cndmask_b32_e64 v12, 0, v12, s3
	s_waitcnt lgkmcnt(2)
	;;#ASMSTART
	
             v_fmac_f32 v68, v86, v90 
             
	;;#ASMEND
	;;#ASMSTART
	
             v_fmac_f32 v64, v86, v91 
             
	;;#ASMEND
	;; [unrolled: 5-line block ×16, first 2 shown]
	s_waitcnt lgkmcnt(1)
	;;#ASMSTART
	
             v_fmac_f32 v78, v86, v94 
             
	;;#ASMEND
	;;#ASMSTART
	
             v_fmac_f32 v77, v86, v95 
             
	;;#ASMEND
	;; [unrolled: 5-line block ×16, first 2 shown]
	ds_load_b128 v[86:89], v82 offset:5632
	s_waitcnt lgkmcnt(1)
	;;#ASMSTART
	
             v_fmac_f32 v45, v98, v90 
             
	;;#ASMEND
	;;#ASMSTART
	
             v_fmac_f32 v47, v98, v91 
             
	;;#ASMEND
	;; [unrolled: 5-line block ×16, first 2 shown]
	ds_load_b128 v[90:93], v83 offset:22016
	;;#ASMSTART
	
             v_fmac_f32 v63, v98, v94 
             
	;;#ASMEND
	;;#ASMSTART
	
             v_fmac_f32 v65, v98, v95 
             
	;;#ASMEND
	;; [unrolled: 5-line block ×16, first 2 shown]
	ds_load_b128 v[94:97], v83 offset:22272
	ds_load_b128 v[98:101], v82 offset:5888
	v_cndmask_b32_e64 v15, 0, v15, s3
	v_cndmask_b32_e64 v14, 0, v14, s3
	s_waitcnt lgkmcnt(2)
	;;#ASMSTART
	
             v_fmac_f32 v68, v86, v90 
             
	;;#ASMEND
	;;#ASMSTART
	
             v_fmac_f32 v64, v86, v91 
             
	;;#ASMEND
	;; [unrolled: 5-line block ×16, first 2 shown]
	s_waitcnt lgkmcnt(1)
	;;#ASMSTART
	
             v_fmac_f32 v78, v86, v94 
             
	;;#ASMEND
	;;#ASMSTART
	
             v_fmac_f32 v77, v86, v95 
             
	;;#ASMEND
	;; [unrolled: 5-line block ×16, first 2 shown]
	ds_load_b128 v[86:89], v82 offset:6144
	s_waitcnt lgkmcnt(1)
	;;#ASMSTART
	
             v_fmac_f32 v45, v98, v90 
             
	;;#ASMEND
	;;#ASMSTART
	
             v_fmac_f32 v47, v98, v91 
             
	;;#ASMEND
	;; [unrolled: 5-line block ×16, first 2 shown]
	ds_load_b128 v[90:93], v83 offset:22528
	;;#ASMSTART
	
             v_fmac_f32 v63, v98, v94 
             
	;;#ASMEND
	;;#ASMSTART
	
             v_fmac_f32 v65, v98, v95 
             
	;;#ASMEND
	;; [unrolled: 5-line block ×16, first 2 shown]
	ds_load_b128 v[94:97], v83 offset:22784
	ds_load_b128 v[98:101], v82 offset:6400
	s_waitcnt lgkmcnt(2)
	;;#ASMSTART
	
             v_fmac_f32 v68, v86, v90 
             
	;;#ASMEND
	;;#ASMSTART
	
             v_fmac_f32 v64, v86, v91 
             
	;;#ASMEND
	;; [unrolled: 5-line block ×16, first 2 shown]
	s_waitcnt lgkmcnt(1)
	;;#ASMSTART
	
             v_fmac_f32 v78, v86, v94 
             
	;;#ASMEND
	;;#ASMSTART
	
             v_fmac_f32 v77, v86, v95 
             
	;;#ASMEND
	;; [unrolled: 5-line block ×16, first 2 shown]
	ds_load_b128 v[85:88], v82 offset:6656
	s_waitcnt lgkmcnt(1)
	;;#ASMSTART
	
             v_fmac_f32 v45, v98, v90 
             
	;;#ASMEND
	;;#ASMSTART
	
             v_fmac_f32 v47, v98, v91 
             
	;;#ASMEND
	;; [unrolled: 5-line block ×16, first 2 shown]
	ds_load_b128 v[89:92], v83 offset:23040
	;;#ASMSTART
	
             v_fmac_f32 v63, v98, v94 
             
	;;#ASMEND
	;;#ASMSTART
	
             v_fmac_f32 v65, v98, v95 
             
	;;#ASMEND
	;; [unrolled: 5-line block ×16, first 2 shown]
	ds_load_b128 v[93:96], v83 offset:23296
	ds_load_b128 v[97:100], v82 offset:6912
	s_and_b32 vcc_lo, s2, vcc_lo
	s_waitcnt lgkmcnt(2)
	;;#ASMSTART
	
             v_fmac_f32 v68, v85, v89 
             
	;;#ASMEND
	;;#ASMSTART
	
             v_fmac_f32 v64, v85, v90 
             
	;;#ASMEND
	;; [unrolled: 5-line block ×16, first 2 shown]
	s_waitcnt lgkmcnt(1)
	;;#ASMSTART
	
             v_fmac_f32 v78, v85, v93 
             
	;;#ASMEND
	;;#ASMSTART
	
             v_fmac_f32 v77, v85, v94 
             
	;;#ASMEND
	;; [unrolled: 5-line block ×16, first 2 shown]
	ds_load_b128 v[85:88], v82 offset:7168
	s_waitcnt lgkmcnt(1)
	;;#ASMSTART
	
             v_fmac_f32 v45, v97, v89 
             
	;;#ASMEND
	;;#ASMSTART
	
             v_fmac_f32 v47, v97, v90 
             
	;;#ASMEND
	;; [unrolled: 5-line block ×16, first 2 shown]
	ds_load_b128 v[89:92], v83 offset:23552
	;;#ASMSTART
	
             v_fmac_f32 v63, v97, v93 
             
	;;#ASMEND
	;;#ASMSTART
	
             v_fmac_f32 v65, v97, v94 
             
	;;#ASMEND
	;; [unrolled: 5-line block ×16, first 2 shown]
	ds_load_b128 v[93:96], v83 offset:23808
	ds_load_b128 v[97:100], v82 offset:7424
	s_waitcnt vmcnt(0)
	v_dual_cndmask_b32 v101, 0, v3 :: v_dual_cndmask_b32 v102, 0, v2
	s_waitcnt lgkmcnt(2)
	;;#ASMSTART
	
             v_fmac_f32 v68, v85, v89 
             
	;;#ASMEND
	;;#ASMSTART
	
             v_fmac_f32 v64, v85, v90 
             
	;;#ASMEND
	;; [unrolled: 5-line block ×16, first 2 shown]
	s_waitcnt lgkmcnt(1)
	;;#ASMSTART
	
             v_fmac_f32 v78, v85, v93 
             
	;;#ASMEND
	;;#ASMSTART
	
             v_fmac_f32 v77, v85, v94 
             
	;;#ASMEND
	;; [unrolled: 5-line block ×16, first 2 shown]
	ds_load_b128 v[85:88], v82 offset:7680
	s_waitcnt lgkmcnt(1)
	;;#ASMSTART
	
             v_fmac_f32 v45, v97, v89 
             
	;;#ASMEND
	;;#ASMSTART
	
             v_fmac_f32 v47, v97, v90 
             
	;;#ASMEND
	;; [unrolled: 5-line block ×16, first 2 shown]
	ds_load_b128 v[89:92], v83 offset:24064
	;;#ASMSTART
	
             v_fmac_f32 v63, v97, v93 
             
	;;#ASMEND
	;;#ASMSTART
	
             v_fmac_f32 v65, v97, v94 
             
	;;#ASMEND
	;; [unrolled: 5-line block ×16, first 2 shown]
	ds_load_b128 v[93:96], v83 offset:24320
	v_dual_cndmask_b32 v97, 0, v1 :: v_dual_cndmask_b32 v98, 0, v0
	ds_load_b128 v[0:3], v82 offset:7936
	s_waitcnt lgkmcnt(2)
	;;#ASMSTART
	
             v_fmac_f32 v68, v85, v89 
             
	;;#ASMEND
	;;#ASMSTART
	
             v_fmac_f32 v64, v85, v90 
             
	;;#ASMEND
	;; [unrolled: 5-line block ×16, first 2 shown]
	s_waitcnt lgkmcnt(1)
	;;#ASMSTART
	
             v_fmac_f32 v78, v85, v93 
             
	;;#ASMEND
	;;#ASMSTART
	
             v_fmac_f32 v77, v85, v94 
             
	;;#ASMEND
	;; [unrolled: 5-line block ×16, first 2 shown]
	s_waitcnt lgkmcnt(0)
	;;#ASMSTART
	
             v_fmac_f32 v45, v0, v89 
             
	;;#ASMEND
	;;#ASMSTART
	
             v_fmac_f32 v47, v0, v90 
             
	;;#ASMEND
	;;#ASMSTART
	
             v_fmac_f32 v41, v0, v91 
             
	;;#ASMEND
	;;#ASMSTART
	
             v_fmac_f32 v36, v0, v92 
             
	;;#ASMEND
	;;#ASMSTART
	
             v_fmac_f32 v30, v1, v89 
             
	;;#ASMEND
	;;#ASMSTART
	
             v_fmac_f32 v31, v1, v90 
             
	;;#ASMEND
	;;#ASMSTART
	
             v_fmac_f32 v32, v1, v91 
             
	;;#ASMEND
	;;#ASMSTART
	
             v_fmac_f32 v29, v1, v92 
             
	;;#ASMEND
	;;#ASMSTART
	
             v_fmac_f32 v24, v2, v89 
             
	;;#ASMEND
	;;#ASMSTART
	
             v_fmac_f32 v22, v2, v90 
             
	;;#ASMEND
	;;#ASMSTART
	
             v_fmac_f32 v23, v2, v91 
             
	;;#ASMEND
	;;#ASMSTART
	
             v_fmac_f32 v21, v2, v92 
             
	;;#ASMEND
	;;#ASMSTART
	
             v_fmac_f32 v19, v3, v89 
             
	;;#ASMEND
	;;#ASMSTART
	
             v_fmac_f32 v20, v3, v90 
             
	;;#ASMEND
	;;#ASMSTART
	
             v_fmac_f32 v17, v3, v91 
             
	;;#ASMEND
	;;#ASMSTART
	
             v_fmac_f32 v18, v3, v92 
             
	;;#ASMEND
	;;#ASMSTART
	
             v_fmac_f32 v63, v0, v93 
             
	;;#ASMEND
	;;#ASMSTART
	
             v_fmac_f32 v65, v0, v94 
             
	;;#ASMEND
	;;#ASMSTART
	
             v_fmac_f32 v60, v0, v95 
             
	;;#ASMEND
	;;#ASMSTART
	
             v_fmac_f32 v61, v0, v96 
             
	;;#ASMEND
	;;#ASMSTART
	
             v_fmac_f32 v48, v1, v93 
             
	;;#ASMEND
	;;#ASMSTART
	
             v_fmac_f32 v50, v1, v94 
             
	;;#ASMEND
	;;#ASMSTART
	
             v_fmac_f32 v49, v1, v95 
             
	;;#ASMEND
	;;#ASMSTART
	
             v_fmac_f32 v51, v1, v96 
             
	;;#ASMEND
	;;#ASMSTART
	
             v_fmac_f32 v33, v2, v93 
             
	;;#ASMEND
	;;#ASMSTART
	
             v_fmac_f32 v42, v2, v94 
             
	;;#ASMEND
	;;#ASMSTART
	
             v_fmac_f32 v43, v2, v95 
             
	;;#ASMEND
	;;#ASMSTART
	
             v_fmac_f32 v79, v2, v96 
             
	;;#ASMEND
	;;#ASMSTART
	
             v_fmac_f32 v71, v3, v93 
             
	;;#ASMEND
	;;#ASMSTART
	
             v_fmac_f32 v73, v3, v94 
             
	;;#ASMEND
	;;#ASMSTART
	
             v_fmac_f32 v74, v3, v95 
             
	;;#ASMEND
	;;#ASMSTART
	
             v_fmac_f32 v16, v3, v96 
             
	;;#ASMEND
	ds_store_2addr_stride64_b32 v84, v12, v13 offset0:32 offset1:34
	ds_store_2addr_stride64_b32 v84, v14, v15 offset0:36 offset1:38
	;; [unrolled: 1-line block ×8, first 2 shown]
	s_waitcnt lgkmcnt(0)
	s_barrier
	ds_load_b128 v[0:3], v82 offset:8192
	ds_load_b128 v[4:7], v83 offset:24576
	ds_load_b128 v[8:11], v83 offset:24832
	ds_load_b128 v[12:15], v82 offset:8448
	s_waitcnt lgkmcnt(2)
	;;#ASMSTART
	
             v_fmac_f32 v68, v0, v4 
             
	;;#ASMEND
	;;#ASMSTART
	
             v_fmac_f32 v64, v0, v5 
             
	;;#ASMEND
	;; [unrolled: 5-line block ×16, first 2 shown]
	s_waitcnt lgkmcnt(1)
	;;#ASMSTART
	
             v_fmac_f32 v78, v0, v8 
             
	;;#ASMEND
	;;#ASMSTART
	
             v_fmac_f32 v77, v0, v9 
             
	;;#ASMEND
	;; [unrolled: 5-line block ×16, first 2 shown]
	ds_load_b128 v[0:3], v82 offset:8704
	s_waitcnt lgkmcnt(1)
	;;#ASMSTART
	
             v_fmac_f32 v45, v12, v4 
             
	;;#ASMEND
	;;#ASMSTART
	
             v_fmac_f32 v47, v12, v5 
             
	;;#ASMEND
	;; [unrolled: 5-line block ×16, first 2 shown]
	ds_load_b128 v[4:7], v83 offset:25088
	;;#ASMSTART
	
             v_fmac_f32 v63, v12, v8 
             
	;;#ASMEND
	;;#ASMSTART
	
             v_fmac_f32 v65, v12, v9 
             
	;;#ASMEND
	;; [unrolled: 5-line block ×16, first 2 shown]
	ds_load_b128 v[8:11], v83 offset:25344
	ds_load_b128 v[12:15], v82 offset:8960
	s_waitcnt lgkmcnt(2)
	;;#ASMSTART
	
             v_fmac_f32 v68, v0, v4 
             
	;;#ASMEND
	;;#ASMSTART
	
             v_fmac_f32 v64, v0, v5 
             
	;;#ASMEND
	;; [unrolled: 5-line block ×16, first 2 shown]
	s_waitcnt lgkmcnt(1)
	;;#ASMSTART
	
             v_fmac_f32 v78, v0, v8 
             
	;;#ASMEND
	;;#ASMSTART
	
             v_fmac_f32 v77, v0, v9 
             
	;;#ASMEND
	;; [unrolled: 5-line block ×16, first 2 shown]
	ds_load_b128 v[0:3], v82 offset:9216
	s_waitcnt lgkmcnt(1)
	;;#ASMSTART
	
             v_fmac_f32 v45, v12, v4 
             
	;;#ASMEND
	;;#ASMSTART
	
             v_fmac_f32 v47, v12, v5 
             
	;;#ASMEND
	;; [unrolled: 5-line block ×16, first 2 shown]
	ds_load_b128 v[4:7], v83 offset:25600
	;;#ASMSTART
	
             v_fmac_f32 v63, v12, v8 
             
	;;#ASMEND
	;;#ASMSTART
	
             v_fmac_f32 v65, v12, v9 
             
	;;#ASMEND
	;; [unrolled: 5-line block ×16, first 2 shown]
	ds_load_b128 v[8:11], v83 offset:25856
	ds_load_b128 v[12:15], v82 offset:9472
	s_waitcnt lgkmcnt(2)
	;;#ASMSTART
	
             v_fmac_f32 v68, v0, v4 
             
	;;#ASMEND
	;;#ASMSTART
	
             v_fmac_f32 v64, v0, v5 
             
	;;#ASMEND
	;; [unrolled: 5-line block ×16, first 2 shown]
	s_waitcnt lgkmcnt(1)
	;;#ASMSTART
	
             v_fmac_f32 v78, v0, v8 
             
	;;#ASMEND
	;;#ASMSTART
	
             v_fmac_f32 v77, v0, v9 
             
	;;#ASMEND
	;;#ASMSTART
	
             v_fmac_f32 v75, v0, v10 
             
	;;#ASMEND
	;;#ASMSTART
	
             v_fmac_f32 v76, v0, v11 
             
	;;#ASMEND
	;;#ASMSTART
	
             v_fmac_f32 v70, v1, v8 
             
	;;#ASMEND
	;;#ASMSTART
	
             v_fmac_f32 v72, v1, v9 
             
	;;#ASMEND
	;;#ASMSTART
	
             v_fmac_f32 v67, v1, v10 
             
	;;#ASMEND
	;;#ASMSTART
	
             v_fmac_f32 v69, v1, v11 
             
	;;#ASMEND
	;;#ASMSTART
	
             v_fmac_f32 v58, v2, v8 
             
	;;#ASMEND
	;;#ASMSTART
	
             v_fmac_f32 v59, v2, v9 
             
	;;#ASMEND
	;;#ASMSTART
	
             v_fmac_f32 v55, v2, v10 
             
	;;#ASMEND
	;;#ASMSTART
	
             v_fmac_f32 v56, v2, v11 
             
	;;#ASMEND
	;;#ASMSTART
	
             v_fmac_f32 v46, v3, v8 
             
	;;#ASMEND
	;;#ASMSTART
	
             v_fmac_f32 v39, v3, v9 
             
	;;#ASMEND
	;;#ASMSTART
	
             v_fmac_f32 v34, v3, v10 
             
	;;#ASMEND
	;;#ASMSTART
	
             v_fmac_f32 v35, v3, v11 
             
	;;#ASMEND
	ds_load_b128 v[0:3], v82 offset:9728
	s_waitcnt lgkmcnt(1)
	;;#ASMSTART
	
             v_fmac_f32 v45, v12, v4 
             
	;;#ASMEND
	;;#ASMSTART
	
             v_fmac_f32 v47, v12, v5 
             
	;;#ASMEND
	;; [unrolled: 5-line block ×16, first 2 shown]
	ds_load_b128 v[4:7], v83 offset:26112
	;;#ASMSTART
	
             v_fmac_f32 v63, v12, v8 
             
	;;#ASMEND
	;;#ASMSTART
	
             v_fmac_f32 v65, v12, v9 
             
	;;#ASMEND
	;; [unrolled: 5-line block ×16, first 2 shown]
	ds_load_b128 v[8:11], v83 offset:26368
	ds_load_b128 v[12:15], v82 offset:9984
	s_waitcnt lgkmcnt(2)
	;;#ASMSTART
	
             v_fmac_f32 v68, v0, v4 
             
	;;#ASMEND
	;;#ASMSTART
	
             v_fmac_f32 v64, v0, v5 
             
	;;#ASMEND
	;; [unrolled: 5-line block ×16, first 2 shown]
	s_waitcnt lgkmcnt(1)
	;;#ASMSTART
	
             v_fmac_f32 v78, v0, v8 
             
	;;#ASMEND
	;;#ASMSTART
	
             v_fmac_f32 v77, v0, v9 
             
	;;#ASMEND
	;; [unrolled: 5-line block ×16, first 2 shown]
	ds_load_b128 v[0:3], v82 offset:10240
	s_waitcnt lgkmcnt(1)
	;;#ASMSTART
	
             v_fmac_f32 v45, v12, v4 
             
	;;#ASMEND
	;;#ASMSTART
	
             v_fmac_f32 v47, v12, v5 
             
	;;#ASMEND
	;; [unrolled: 5-line block ×16, first 2 shown]
	ds_load_b128 v[4:7], v83 offset:26624
	;;#ASMSTART
	
             v_fmac_f32 v63, v12, v8 
             
	;;#ASMEND
	;;#ASMSTART
	
             v_fmac_f32 v65, v12, v9 
             
	;;#ASMEND
	;; [unrolled: 5-line block ×16, first 2 shown]
	ds_load_b128 v[8:11], v83 offset:26880
	ds_load_b128 v[12:15], v82 offset:10496
	s_waitcnt lgkmcnt(2)
	;;#ASMSTART
	
             v_fmac_f32 v68, v0, v4 
             
	;;#ASMEND
	;;#ASMSTART
	
             v_fmac_f32 v64, v0, v5 
             
	;;#ASMEND
	;; [unrolled: 5-line block ×16, first 2 shown]
	s_waitcnt lgkmcnt(1)
	;;#ASMSTART
	
             v_fmac_f32 v78, v0, v8 
             
	;;#ASMEND
	;;#ASMSTART
	
             v_fmac_f32 v77, v0, v9 
             
	;;#ASMEND
	;; [unrolled: 5-line block ×16, first 2 shown]
	ds_load_b128 v[0:3], v82 offset:10752
	s_waitcnt lgkmcnt(1)
	;;#ASMSTART
	
             v_fmac_f32 v45, v12, v4 
             
	;;#ASMEND
	;;#ASMSTART
	
             v_fmac_f32 v47, v12, v5 
             
	;;#ASMEND
	;; [unrolled: 5-line block ×16, first 2 shown]
	ds_load_b128 v[4:7], v83 offset:27136
	;;#ASMSTART
	
             v_fmac_f32 v63, v12, v8 
             
	;;#ASMEND
	;;#ASMSTART
	
             v_fmac_f32 v65, v12, v9 
             
	;;#ASMEND
	;; [unrolled: 5-line block ×16, first 2 shown]
	ds_load_b128 v[8:11], v83 offset:27392
	ds_load_b128 v[12:15], v82 offset:11008
	s_waitcnt lgkmcnt(2)
	;;#ASMSTART
	
             v_fmac_f32 v68, v0, v4 
             
	;;#ASMEND
	;;#ASMSTART
	
             v_fmac_f32 v64, v0, v5 
             
	;;#ASMEND
	;; [unrolled: 5-line block ×16, first 2 shown]
	s_waitcnt lgkmcnt(1)
	;;#ASMSTART
	
             v_fmac_f32 v78, v0, v8 
             
	;;#ASMEND
	;;#ASMSTART
	
             v_fmac_f32 v77, v0, v9 
             
	;;#ASMEND
	;; [unrolled: 5-line block ×16, first 2 shown]
	ds_load_b128 v[0:3], v82 offset:11264
	s_waitcnt lgkmcnt(1)
	;;#ASMSTART
	
             v_fmac_f32 v45, v12, v4 
             
	;;#ASMEND
	;;#ASMSTART
	
             v_fmac_f32 v47, v12, v5 
             
	;;#ASMEND
	;; [unrolled: 5-line block ×16, first 2 shown]
	ds_load_b128 v[4:7], v83 offset:27648
	;;#ASMSTART
	
             v_fmac_f32 v63, v12, v8 
             
	;;#ASMEND
	;;#ASMSTART
	
             v_fmac_f32 v65, v12, v9 
             
	;;#ASMEND
	;; [unrolled: 5-line block ×16, first 2 shown]
	ds_load_b128 v[8:11], v83 offset:27904
	ds_load_b128 v[12:15], v82 offset:11520
	s_waitcnt lgkmcnt(2)
	;;#ASMSTART
	
             v_fmac_f32 v68, v0, v4 
             
	;;#ASMEND
	;;#ASMSTART
	
             v_fmac_f32 v64, v0, v5 
             
	;;#ASMEND
	;; [unrolled: 5-line block ×16, first 2 shown]
	s_waitcnt lgkmcnt(1)
	;;#ASMSTART
	
             v_fmac_f32 v78, v0, v8 
             
	;;#ASMEND
	;;#ASMSTART
	
             v_fmac_f32 v77, v0, v9 
             
	;;#ASMEND
	;; [unrolled: 5-line block ×16, first 2 shown]
	ds_load_b128 v[0:3], v82 offset:11776
	s_waitcnt lgkmcnt(1)
	;;#ASMSTART
	
             v_fmac_f32 v45, v12, v4 
             
	;;#ASMEND
	;;#ASMSTART
	
             v_fmac_f32 v47, v12, v5 
             
	;;#ASMEND
	;; [unrolled: 5-line block ×16, first 2 shown]
	ds_load_b128 v[4:7], v83 offset:28160
	;;#ASMSTART
	
             v_fmac_f32 v63, v12, v8 
             
	;;#ASMEND
	;;#ASMSTART
	
             v_fmac_f32 v65, v12, v9 
             
	;;#ASMEND
	;; [unrolled: 5-line block ×16, first 2 shown]
	ds_load_b128 v[8:11], v83 offset:28416
	ds_load_b128 v[12:15], v82 offset:12032
	s_waitcnt lgkmcnt(2)
	;;#ASMSTART
	
             v_fmac_f32 v68, v0, v4 
             
	;;#ASMEND
	;;#ASMSTART
	
             v_fmac_f32 v64, v0, v5 
             
	;;#ASMEND
	;; [unrolled: 5-line block ×16, first 2 shown]
	s_waitcnt lgkmcnt(1)
	;;#ASMSTART
	
             v_fmac_f32 v78, v0, v8 
             
	;;#ASMEND
	;;#ASMSTART
	
             v_fmac_f32 v77, v0, v9 
             
	;;#ASMEND
	;; [unrolled: 5-line block ×16, first 2 shown]
	ds_load_b128 v[0:3], v82 offset:12288
	s_waitcnt lgkmcnt(1)
	;;#ASMSTART
	
             v_fmac_f32 v45, v12, v4 
             
	;;#ASMEND
	;;#ASMSTART
	
             v_fmac_f32 v47, v12, v5 
             
	;;#ASMEND
	;; [unrolled: 5-line block ×16, first 2 shown]
	ds_load_b128 v[4:7], v83 offset:28672
	;;#ASMSTART
	
             v_fmac_f32 v63, v12, v8 
             
	;;#ASMEND
	;;#ASMSTART
	
             v_fmac_f32 v65, v12, v9 
             
	;;#ASMEND
	;; [unrolled: 5-line block ×16, first 2 shown]
	ds_load_b128 v[8:11], v83 offset:28928
	ds_load_b128 v[12:15], v82 offset:12544
	s_waitcnt lgkmcnt(2)
	;;#ASMSTART
	
             v_fmac_f32 v68, v0, v4 
             
	;;#ASMEND
	;;#ASMSTART
	
             v_fmac_f32 v64, v0, v5 
             
	;;#ASMEND
	;;#ASMSTART
	
             v_fmac_f32 v66, v0, v6 
             
	;;#ASMEND
	;;#ASMSTART
	
             v_fmac_f32 v62, v0, v7 
             
	;;#ASMEND
	;;#ASMSTART
	
             v_fmac_f32 v53, v1, v4 
             
	;;#ASMEND
	;;#ASMSTART
	
             v_fmac_f32 v57, v1, v5 
             
	;;#ASMEND
	;;#ASMSTART
	
             v_fmac_f32 v54, v1, v6 
             
	;;#ASMEND
	;;#ASMSTART
	
             v_fmac_f32 v52, v1, v7 
             
	;;#ASMEND
	;;#ASMSTART
	
             v_fmac_f32 v38, v2, v4 
             
	;;#ASMEND
	;;#ASMSTART
	
             v_fmac_f32 v40, v2, v5 
             
	;;#ASMEND
	;;#ASMSTART
	
             v_fmac_f32 v44, v2, v6 
             
	;;#ASMEND
	;;#ASMSTART
	
             v_fmac_f32 v37, v2, v7 
             
	;;#ASMEND
	;;#ASMSTART
	
             v_fmac_f32 v28, v3, v4 
             
	;;#ASMEND
	;;#ASMSTART
	
             v_fmac_f32 v26, v3, v5 
             
	;;#ASMEND
	;;#ASMSTART
	
             v_fmac_f32 v27, v3, v6 
             
	;;#ASMEND
	;;#ASMSTART
	
             v_fmac_f32 v25, v3, v7 
             
	;;#ASMEND
	s_waitcnt lgkmcnt(1)
	;;#ASMSTART
	
             v_fmac_f32 v78, v0, v8 
             
	;;#ASMEND
	;;#ASMSTART
	
             v_fmac_f32 v77, v0, v9 
             
	;;#ASMEND
	;; [unrolled: 5-line block ×16, first 2 shown]
	ds_load_b128 v[0:3], v82 offset:12800
	s_waitcnt lgkmcnt(1)
	;;#ASMSTART
	
             v_fmac_f32 v45, v12, v4 
             
	;;#ASMEND
	;;#ASMSTART
	
             v_fmac_f32 v47, v12, v5 
             
	;;#ASMEND
	;; [unrolled: 5-line block ×16, first 2 shown]
	ds_load_b128 v[4:7], v83 offset:29184
	;;#ASMSTART
	
             v_fmac_f32 v63, v12, v8 
             
	;;#ASMEND
	;;#ASMSTART
	
             v_fmac_f32 v65, v12, v9 
             
	;;#ASMEND
	;;#ASMSTART
	
             v_fmac_f32 v60, v12, v10 
             
	;;#ASMEND
	;;#ASMSTART
	
             v_fmac_f32 v61, v12, v11 
             
	;;#ASMEND
	;;#ASMSTART
	
             v_fmac_f32 v48, v13, v8 
             
	;;#ASMEND
	;;#ASMSTART
	
             v_fmac_f32 v50, v13, v9 
             
	;;#ASMEND
	;;#ASMSTART
	
             v_fmac_f32 v49, v13, v10 
             
	;;#ASMEND
	;;#ASMSTART
	
             v_fmac_f32 v51, v13, v11 
             
	;;#ASMEND
	;;#ASMSTART
	
             v_fmac_f32 v33, v14, v8 
             
	;;#ASMEND
	;;#ASMSTART
	
             v_fmac_f32 v42, v14, v9 
             
	;;#ASMEND
	;;#ASMSTART
	
             v_fmac_f32 v43, v14, v10 
             
	;;#ASMEND
	;;#ASMSTART
	
             v_fmac_f32 v79, v14, v11 
             
	;;#ASMEND
	;;#ASMSTART
	
             v_fmac_f32 v71, v15, v8 
             
	;;#ASMEND
	;;#ASMSTART
	
             v_fmac_f32 v73, v15, v9 
             
	;;#ASMEND
	;;#ASMSTART
	
             v_fmac_f32 v74, v15, v10 
             
	;;#ASMEND
	;;#ASMSTART
	
             v_fmac_f32 v16, v15, v11 
             
	;;#ASMEND
	ds_load_b128 v[8:11], v83 offset:29440
	ds_load_b128 v[12:15], v82 offset:13056
	s_waitcnt lgkmcnt(2)
	;;#ASMSTART
	
             v_fmac_f32 v68, v0, v4 
             
	;;#ASMEND
	;;#ASMSTART
	
             v_fmac_f32 v64, v0, v5 
             
	;;#ASMEND
	;; [unrolled: 5-line block ×16, first 2 shown]
	s_waitcnt lgkmcnt(1)
	;;#ASMSTART
	
             v_fmac_f32 v78, v0, v8 
             
	;;#ASMEND
	;;#ASMSTART
	
             v_fmac_f32 v77, v0, v9 
             
	;;#ASMEND
	;; [unrolled: 5-line block ×16, first 2 shown]
	ds_load_b128 v[0:3], v82 offset:13312
	s_waitcnt lgkmcnt(1)
	;;#ASMSTART
	
             v_fmac_f32 v45, v12, v4 
             
	;;#ASMEND
	;;#ASMSTART
	
             v_fmac_f32 v47, v12, v5 
             
	;;#ASMEND
	;; [unrolled: 5-line block ×16, first 2 shown]
	ds_load_b128 v[4:7], v83 offset:29696
	;;#ASMSTART
	
             v_fmac_f32 v63, v12, v8 
             
	;;#ASMEND
	;;#ASMSTART
	
             v_fmac_f32 v65, v12, v9 
             
	;;#ASMEND
	;; [unrolled: 5-line block ×16, first 2 shown]
	ds_load_b128 v[8:11], v83 offset:29952
	ds_load_b128 v[12:15], v82 offset:13568
	s_waitcnt lgkmcnt(2)
	;;#ASMSTART
	
             v_fmac_f32 v68, v0, v4 
             
	;;#ASMEND
	;;#ASMSTART
	
             v_fmac_f32 v64, v0, v5 
             
	;;#ASMEND
	;;#ASMSTART
	
             v_fmac_f32 v66, v0, v6 
             
	;;#ASMEND
	;;#ASMSTART
	
             v_fmac_f32 v62, v0, v7 
             
	;;#ASMEND
	;;#ASMSTART
	
             v_fmac_f32 v53, v1, v4 
             
	;;#ASMEND
	;;#ASMSTART
	
             v_fmac_f32 v57, v1, v5 
             
	;;#ASMEND
	;;#ASMSTART
	
             v_fmac_f32 v54, v1, v6 
             
	;;#ASMEND
	;;#ASMSTART
	
             v_fmac_f32 v52, v1, v7 
             
	;;#ASMEND
	;;#ASMSTART
	
             v_fmac_f32 v38, v2, v4 
             
	;;#ASMEND
	;;#ASMSTART
	
             v_fmac_f32 v40, v2, v5 
             
	;;#ASMEND
	;;#ASMSTART
	
             v_fmac_f32 v44, v2, v6 
             
	;;#ASMEND
	;;#ASMSTART
	
             v_fmac_f32 v37, v2, v7 
             
	;;#ASMEND
	;;#ASMSTART
	
             v_fmac_f32 v28, v3, v4 
             
	;;#ASMEND
	;;#ASMSTART
	
             v_fmac_f32 v26, v3, v5 
             
	;;#ASMEND
	;;#ASMSTART
	
             v_fmac_f32 v27, v3, v6 
             
	;;#ASMEND
	;;#ASMSTART
	
             v_fmac_f32 v25, v3, v7 
             
	;;#ASMEND
	s_waitcnt lgkmcnt(1)
	;;#ASMSTART
	
             v_fmac_f32 v78, v0, v8 
             
	;;#ASMEND
	;;#ASMSTART
	
             v_fmac_f32 v77, v0, v9 
             
	;;#ASMEND
	;; [unrolled: 5-line block ×16, first 2 shown]
	ds_load_b128 v[0:3], v82 offset:13824
	s_waitcnt lgkmcnt(1)
	;;#ASMSTART
	
             v_fmac_f32 v45, v12, v4 
             
	;;#ASMEND
	;;#ASMSTART
	
             v_fmac_f32 v47, v12, v5 
             
	;;#ASMEND
	;; [unrolled: 5-line block ×16, first 2 shown]
	ds_load_b128 v[4:7], v83 offset:30208
	;;#ASMSTART
	
             v_fmac_f32 v63, v12, v8 
             
	;;#ASMEND
	;;#ASMSTART
	
             v_fmac_f32 v65, v12, v9 
             
	;;#ASMEND
	;; [unrolled: 5-line block ×16, first 2 shown]
	ds_load_b128 v[8:11], v83 offset:30464
	ds_load_b128 v[12:15], v82 offset:14080
	s_waitcnt lgkmcnt(2)
	;;#ASMSTART
	
             v_fmac_f32 v68, v0, v4 
             
	;;#ASMEND
	;;#ASMSTART
	
             v_fmac_f32 v64, v0, v5 
             
	;;#ASMEND
	;; [unrolled: 5-line block ×16, first 2 shown]
	s_waitcnt lgkmcnt(1)
	;;#ASMSTART
	
             v_fmac_f32 v78, v0, v8 
             
	;;#ASMEND
	;;#ASMSTART
	
             v_fmac_f32 v77, v0, v9 
             
	;;#ASMEND
	;; [unrolled: 5-line block ×16, first 2 shown]
	ds_load_b128 v[0:3], v82 offset:14336
	s_waitcnt lgkmcnt(1)
	;;#ASMSTART
	
             v_fmac_f32 v45, v12, v4 
             
	;;#ASMEND
	;;#ASMSTART
	
             v_fmac_f32 v47, v12, v5 
             
	;;#ASMEND
	;; [unrolled: 5-line block ×16, first 2 shown]
	ds_load_b128 v[4:7], v83 offset:30720
	;;#ASMSTART
	
             v_fmac_f32 v63, v12, v8 
             
	;;#ASMEND
	;;#ASMSTART
	
             v_fmac_f32 v65, v12, v9 
             
	;;#ASMEND
	;;#ASMSTART
	
             v_fmac_f32 v60, v12, v10 
             
	;;#ASMEND
	;;#ASMSTART
	
             v_fmac_f32 v61, v12, v11 
             
	;;#ASMEND
	;;#ASMSTART
	
             v_fmac_f32 v48, v13, v8 
             
	;;#ASMEND
	;;#ASMSTART
	
             v_fmac_f32 v50, v13, v9 
             
	;;#ASMEND
	;;#ASMSTART
	
             v_fmac_f32 v49, v13, v10 
             
	;;#ASMEND
	;;#ASMSTART
	
             v_fmac_f32 v51, v13, v11 
             
	;;#ASMEND
	;;#ASMSTART
	
             v_fmac_f32 v33, v14, v8 
             
	;;#ASMEND
	;;#ASMSTART
	
             v_fmac_f32 v42, v14, v9 
             
	;;#ASMEND
	;;#ASMSTART
	
             v_fmac_f32 v43, v14, v10 
             
	;;#ASMEND
	;;#ASMSTART
	
             v_fmac_f32 v79, v14, v11 
             
	;;#ASMEND
	;;#ASMSTART
	
             v_fmac_f32 v71, v15, v8 
             
	;;#ASMEND
	;;#ASMSTART
	
             v_fmac_f32 v73, v15, v9 
             
	;;#ASMEND
	;;#ASMSTART
	
             v_fmac_f32 v74, v15, v10 
             
	;;#ASMEND
	;;#ASMSTART
	
             v_fmac_f32 v16, v15, v11 
             
	;;#ASMEND
	ds_load_b128 v[8:11], v83 offset:30976
	ds_load_b128 v[12:15], v82 offset:14592
	s_waitcnt lgkmcnt(2)
	;;#ASMSTART
	
             v_fmac_f32 v68, v0, v4 
             
	;;#ASMEND
	;;#ASMSTART
	
             v_fmac_f32 v64, v0, v5 
             
	;;#ASMEND
	;; [unrolled: 5-line block ×16, first 2 shown]
	s_waitcnt lgkmcnt(1)
	;;#ASMSTART
	
             v_fmac_f32 v78, v0, v8 
             
	;;#ASMEND
	;;#ASMSTART
	
             v_fmac_f32 v77, v0, v9 
             
	;;#ASMEND
	;; [unrolled: 5-line block ×16, first 2 shown]
	ds_load_b128 v[0:3], v82 offset:14848
	s_waitcnt lgkmcnt(1)
	;;#ASMSTART
	
             v_fmac_f32 v45, v12, v4 
             
	;;#ASMEND
	;;#ASMSTART
	
             v_fmac_f32 v47, v12, v5 
             
	;;#ASMEND
	;; [unrolled: 5-line block ×16, first 2 shown]
	ds_load_b128 v[4:7], v83 offset:31232
	;;#ASMSTART
	
             v_fmac_f32 v63, v12, v8 
             
	;;#ASMEND
	;;#ASMSTART
	
             v_fmac_f32 v65, v12, v9 
             
	;;#ASMEND
	;; [unrolled: 5-line block ×16, first 2 shown]
	ds_load_b128 v[8:11], v83 offset:31488
	ds_load_b128 v[12:15], v82 offset:15104
	s_waitcnt lgkmcnt(2)
	;;#ASMSTART
	
             v_fmac_f32 v68, v0, v4 
             
	;;#ASMEND
	;;#ASMSTART
	
             v_fmac_f32 v64, v0, v5 
             
	;;#ASMEND
	;; [unrolled: 5-line block ×16, first 2 shown]
	s_waitcnt lgkmcnt(1)
	;;#ASMSTART
	
             v_fmac_f32 v78, v0, v8 
             
	;;#ASMEND
	;;#ASMSTART
	
             v_fmac_f32 v77, v0, v9 
             
	;;#ASMEND
	;; [unrolled: 5-line block ×16, first 2 shown]
	ds_load_b128 v[0:3], v82 offset:15360
	s_waitcnt lgkmcnt(1)
	;;#ASMSTART
	
             v_fmac_f32 v45, v12, v4 
             
	;;#ASMEND
	;;#ASMSTART
	
             v_fmac_f32 v47, v12, v5 
             
	;;#ASMEND
	;; [unrolled: 5-line block ×16, first 2 shown]
	ds_load_b128 v[4:7], v83 offset:31744
	;;#ASMSTART
	
             v_fmac_f32 v63, v12, v8 
             
	;;#ASMEND
	;;#ASMSTART
	
             v_fmac_f32 v65, v12, v9 
             
	;;#ASMEND
	;; [unrolled: 5-line block ×16, first 2 shown]
	ds_load_b128 v[8:11], v83 offset:32000
	ds_load_b128 v[12:15], v82 offset:15616
	s_waitcnt lgkmcnt(2)
	;;#ASMSTART
	
             v_fmac_f32 v68, v0, v4 
             
	;;#ASMEND
	;;#ASMSTART
	
             v_fmac_f32 v64, v0, v5 
             
	;;#ASMEND
	;;#ASMSTART
	
             v_fmac_f32 v66, v0, v6 
             
	;;#ASMEND
	;;#ASMSTART
	
             v_fmac_f32 v62, v0, v7 
             
	;;#ASMEND
	;;#ASMSTART
	
             v_fmac_f32 v53, v1, v4 
             
	;;#ASMEND
	;;#ASMSTART
	
             v_fmac_f32 v57, v1, v5 
             
	;;#ASMEND
	;;#ASMSTART
	
             v_fmac_f32 v54, v1, v6 
             
	;;#ASMEND
	;;#ASMSTART
	
             v_fmac_f32 v52, v1, v7 
             
	;;#ASMEND
	;;#ASMSTART
	
             v_fmac_f32 v38, v2, v4 
             
	;;#ASMEND
	;;#ASMSTART
	
             v_fmac_f32 v40, v2, v5 
             
	;;#ASMEND
	;;#ASMSTART
	
             v_fmac_f32 v44, v2, v6 
             
	;;#ASMEND
	;;#ASMSTART
	
             v_fmac_f32 v37, v2, v7 
             
	;;#ASMEND
	;;#ASMSTART
	
             v_fmac_f32 v28, v3, v4 
             
	;;#ASMEND
	;;#ASMSTART
	
             v_fmac_f32 v26, v3, v5 
             
	;;#ASMEND
	;;#ASMSTART
	
             v_fmac_f32 v27, v3, v6 
             
	;;#ASMEND
	;;#ASMSTART
	
             v_fmac_f32 v25, v3, v7 
             
	;;#ASMEND
	s_waitcnt lgkmcnt(1)
	;;#ASMSTART
	
             v_fmac_f32 v78, v0, v8 
             
	;;#ASMEND
	;;#ASMSTART
	
             v_fmac_f32 v77, v0, v9 
             
	;;#ASMEND
	;; [unrolled: 5-line block ×16, first 2 shown]
	ds_load_b128 v[0:3], v82 offset:15872
	s_waitcnt lgkmcnt(1)
	;;#ASMSTART
	
             v_fmac_f32 v45, v12, v4 
             
	;;#ASMEND
	;;#ASMSTART
	
             v_fmac_f32 v47, v12, v5 
             
	;;#ASMEND
	;; [unrolled: 5-line block ×16, first 2 shown]
	ds_load_b128 v[4:7], v83 offset:32256
	;;#ASMSTART
	
             v_fmac_f32 v63, v12, v8 
             
	;;#ASMEND
	;;#ASMSTART
	
             v_fmac_f32 v65, v12, v9 
             
	;;#ASMEND
	;; [unrolled: 5-line block ×16, first 2 shown]
	ds_load_b128 v[8:11], v83 offset:32512
	s_clause 0x3
	s_load_b64 s[2:3], s[0:1], 0x158
	s_load_b32 s6, s[0:1], 0x164
	s_load_b32 s4, s[0:1], 0x170
	;; [unrolled: 1-line block ×3, first 2 shown]
	ds_load_b128 v[12:15], v82 offset:16128
	s_waitcnt lgkmcnt(0)
	;;#ASMSTART
	
             v_fmac_f32 v68, v0, v4 
             
	;;#ASMEND
	;;#ASMSTART
	
             v_fmac_f32 v64, v0, v5 
             
	;;#ASMEND
	;; [unrolled: 5-line block ×20, first 2 shown]
	v_add_nc_u32_e32 v0, s11, v81
	;;#ASMSTART
	
             v_fmac_f32 v70, v1, v8 
             
	;;#ASMEND
	;;#ASMSTART
	
             v_fmac_f32 v72, v1, v9 
             
	;;#ASMEND
	;; [unrolled: 5-line block ×8, first 2 shown]
	v_mul_lo_u32 v2, v0, s2
	v_add_nc_u32_e32 v1, s14, v80
	s_lshl_b32 s30, s5, 2
	s_mov_b32 s31, s27
	;;#ASMSTART
	
             v_fmac_f32 v46, v3, v8 
             
	;;#ASMEND
	;;#ASMSTART
	
             v_fmac_f32 v39, v3, v9 
             
	;;#ASMEND
	;; [unrolled: 5-line block ×4, first 2 shown]
	v_mad_u64_u32 v[80:81], null, v1, s3, v[2:3]
	;;#ASMSTART
	
             v_fmac_f32 v45, v12, v4 
             
	;;#ASMEND
	;;#ASMSTART
	
             v_fmac_f32 v47, v12, v5 
             
	;;#ASMEND
	;; [unrolled: 5-line block ×6, first 2 shown]
	s_delay_alu instid0(VALU_DEP_1)
	v_lshlrev_b32_e32 v2, 2, v80
	;;#ASMSTART
	
             v_fmac_f32 v32, v13, v6 
             
	;;#ASMEND
	;;#ASMSTART
	
             v_fmac_f32 v29, v13, v7 
             
	;;#ASMEND
	;; [unrolled: 5-line block ×26, first 2 shown]
	buffer_load_b128 v[2:5], v2, s[28:31], 0 offen
	v_add_nc_u32_e32 v14, s2, v80
	s_lshl_b32 s3, s3, 6
	v_cmp_gt_i32_e32 vcc_lo, s4, v1
	v_add_lshl_u32 v6, v80, s3, 2
	s_mov_b32 s15, s27
	v_lshlrev_b32_e32 v10, 2, v14
	v_add_lshl_u32 v15, v14, s3, 2
	v_add_nc_u32_e32 v14, s2, v14
	s_clause 0x2
	buffer_load_b128 v[6:9], v6, s[28:31], 0 offen
	buffer_load_b128 v[10:13], v10, s[28:31], 0 offen
	buffer_load_b128 v[80:83], v15, s[28:31], 0 offen
	v_lshlrev_b32_e32 v15, 2, v14
	buffer_load_b128 v[84:87], v15, s[28:31], 0 offen
	v_add_lshl_u32 v15, v14, s3, 2
	v_add_nc_u32_e32 v14, s2, v14
	buffer_load_b128 v[88:91], v15, s[28:31], 0 offen
	v_lshlrev_b32_e32 v15, 2, v14
	buffer_load_b128 v[92:95], v15, s[28:31], 0 offen
	v_add_lshl_u32 v15, v14, s3, 2
	buffer_load_b128 v[96:99], v15, s[28:31], 0 offen
	v_mad_u64_u32 v[108:109], null, s2, 61, v[14:15]
	s_delay_alu instid0(VALU_DEP_1) | instskip(SKIP_4) | instid1(VALU_DEP_1)
	v_lshlrev_b32_e32 v14, 2, v108
	buffer_load_b128 v[100:103], v14, s[28:31], 0 offen
	v_add_lshl_u32 v14, v108, s3, 2
	buffer_load_b128 v[104:107], v14, s[28:31], 0 offen
	v_add_nc_u32_e32 v14, s2, v108
	v_lshlrev_b32_e32 v15, 2, v14
	buffer_load_b128 v[108:111], v15, s[28:31], 0 offen
	v_add_lshl_u32 v15, v14, s3, 2
	v_add_nc_u32_e32 v14, s2, v14
	buffer_load_b128 v[112:115], v15, s[28:31], 0 offen
	v_lshlrev_b32_e32 v15, 2, v14
	buffer_load_b128 v[116:119], v15, s[28:31], 0 offen
	v_add_lshl_u32 v15, v14, s3, 2
	v_add_nc_u32_e32 v14, s2, v14
	v_cmp_gt_i32_e64 s2, s6, v0
	buffer_load_b128 v[120:123], v15, s[28:31], 0 offen
	v_lshlrev_b32_e32 v15, 2, v14
	v_add_lshl_u32 v14, v14, s3, 2
	s_and_b32 s3, s2, vcc_lo
	s_clause 0x1
	buffer_load_b128 v[124:127], v15, s[28:31], 0 offen
	buffer_load_b128 v[128:131], v14, s[28:31], 0 offen
	v_add_nc_u32_e32 v15, 64, v1
	s_waitcnt vmcnt(15)
	v_cndmask_b32_e64 v3, 0, v3, s3
	v_cndmask_b32_e64 v5, 0, v5, s3
	;; [unrolled: 1-line block ×4, first 2 shown]
	v_cmp_gt_i32_e64 s3, s4, v15
	v_add_f32_e32 v3, v64, v3
	s_clause 0x3
	s_load_b64 s[4:5], s[0:1], 0x1a8
	s_load_b32 s7, s[0:1], 0x1b4
	s_load_b32 s9, s[0:1], 0x1c0
	;; [unrolled: 1-line block ×3, first 2 shown]
	v_dual_add_f32 v5, v62, v5 :: v_dual_add_f32 v2, v68, v2
	s_and_b32 s0, s2, s3
	v_max_f32_e32 v3, 0, v3
	v_or_b32_e32 v64, 1, v0
	s_waitcnt vmcnt(14)
	v_cndmask_b32_e64 v9, 0, v9, s0
	v_cndmask_b32_e64 v6, 0, v6, s0
	;; [unrolled: 1-line block ×4, first 2 shown]
	v_cmp_gt_i32_e64 s1, s6, v64
	v_dual_add_f32 v9, v76, v9 :: v_dual_add_f32 v4, v66, v4
	s_delay_alu instid0(VALU_DEP_3) | instskip(NEXT) | instid1(VALU_DEP_3)
	v_dual_add_f32 v7, v77, v7 :: v_dual_add_f32 v8, v75, v8
	s_and_b32 s0, s1, vcc_lo
	v_add_f32_e32 v6, v78, v6
	s_waitcnt vmcnt(13)
	v_cndmask_b32_e64 v10, 0, v10, s0
	v_cndmask_b32_e64 v12, 0, v12, s0
	;; [unrolled: 1-line block ×4, first 2 shown]
	s_and_b32 s0, s1, s3
	v_add_f32_e32 v10, v53, v10
	s_waitcnt vmcnt(12)
	v_cndmask_b32_e64 v53, 0, v80, s0
	v_or_b32_e32 v80, 2, v0
	v_add_f32_e32 v12, v54, v12
	v_cndmask_b32_e64 v54, 0, v81, s0
	v_dual_max_f32 v10, 0, v10 :: v_dual_add_f32 v13, v52, v13
	s_delay_alu instid0(VALU_DEP_4) | instskip(NEXT) | instid1(VALU_DEP_3)
	v_cmp_gt_i32_e64 s1, s6, v80
	v_dual_add_f32 v52, v70, v53 :: v_dual_add_f32 v53, v72, v54
	v_cndmask_b32_e64 v54, 0, v82, s0
	v_cndmask_b32_e64 v14, 0, v83, s0
	s_delay_alu instid0(VALU_DEP_4)
	s_and_b32 s0, s1, vcc_lo
	v_add_f32_e32 v11, v57, v11
	s_waitcnt vmcnt(11)
	v_cndmask_b32_e64 v57, 0, v85, s0
	v_cndmask_b32_e64 v62, 0, v86, s0
	v_dual_add_f32 v54, v67, v54 :: v_dual_max_f32 v13, 0, v13
	v_add_f32_e32 v14, v69, v14
	s_delay_alu instid0(VALU_DEP_4) | instskip(SKIP_1) | instid1(VALU_DEP_4)
	v_add_f32_e32 v40, v40, v57
	v_or_b32_e32 v70, 3, v0
	v_max_f32_e32 v77, 0, v54
	v_dual_add_f32 v44, v44, v62 :: v_dual_add_nc_u32 v81, 0x41, v0
	s_delay_alu instid0(VALU_DEP_4)
	v_max_f32_e32 v67, 0, v40
	v_add_nc_u32_e32 v82, 0x43, v0
	s_waitcnt lgkmcnt(0)
	v_cmp_gt_i32_e64 s2, s7, v64
	v_max_f32_e32 v68, 0, v44
	v_max_f32_e32 v76, 0, v53
	v_cndmask_b32_e64 v53, 0, v84, s0
	v_max_f32_e32 v75, 0, v52
	v_cndmask_b32_e64 v52, 0, v87, s0
	s_and_b32 s0, s1, s3
	v_cmp_gt_i32_e64 s1, s6, v70
	v_add_f32_e32 v38, v38, v53
	s_waitcnt vmcnt(10)
	v_cndmask_b32_e64 v40, 0, v89, s0
	v_max_f32_e32 v2, 0, v2
	v_dual_max_f32 v4, 0, v4 :: v_dual_max_f32 v5, 0, v5
	v_max_f32_e32 v6, 0, v6
	s_delay_alu instid0(VALU_DEP_4)
	v_add_f32_e32 v40, v59, v40
	v_max_f32_e32 v78, 0, v14
	v_add_f32_e32 v14, v37, v52
	v_cndmask_b32_e64 v37, 0, v91, s0
	v_max_f32_e32 v66, 0, v38
	v_cndmask_b32_e64 v38, 0, v88, s0
	v_max_f32_e32 v7, 0, v7
	v_max_f32_e32 v69, 0, v14
	v_cndmask_b32_e64 v14, 0, v90, s0
	s_and_b32 s0, s1, vcc_lo
	v_add_f32_e32 v38, v58, v38
	s_waitcnt vmcnt(9)
	v_cndmask_b32_e64 v54, 0, v92, s0
	v_cndmask_b32_e64 v44, 0, v95, s0
	v_dual_add_f32 v14, v55, v14 :: v_dual_add_f32 v37, v56, v37
	v_max_f32_e32 v52, 0, v38
	v_cndmask_b32_e64 v38, 0, v93, s0
	v_add_f32_e32 v28, v28, v54
	s_delay_alu instid0(VALU_DEP_4) | instskip(SKIP_1) | instid1(VALU_DEP_4)
	v_dual_max_f32 v54, 0, v14 :: v_dual_max_f32 v55, 0, v37
	v_max_f32_e32 v8, 0, v8
	v_add_f32_e32 v14, v26, v38
	s_delay_alu instid0(VALU_DEP_4) | instskip(SKIP_2) | instid1(VALU_DEP_3)
	v_dual_max_f32 v56, 0, v28 :: v_dual_max_f32 v9, 0, v9
	s_lshl_b32 s14, s8, 2
	v_max_f32_e32 v11, 0, v11
	v_max_f32_e32 v57, 0, v14
	v_max_f32_e32 v53, 0, v40
	v_cndmask_b32_e64 v40, 0, v94, s0
	v_add_f32_e32 v14, v25, v44
	s_and_b32 s0, s1, s3
	v_max_f32_e32 v12, 0, v12
	s_waitcnt vmcnt(8)
	v_cndmask_b32_e64 v28, 0, v96, s0
	v_dual_add_f32 v26, v27, v40 :: v_dual_max_f32 v59, 0, v14
	v_cndmask_b32_e64 v14, 0, v98, s0
	v_cndmask_b32_e64 v27, 0, v99, s0
	s_delay_alu instid0(VALU_DEP_3) | instskip(SKIP_1) | instid1(VALU_DEP_4)
	v_dual_add_f32 v25, v46, v28 :: v_dual_max_f32 v58, 0, v26
	v_cndmask_b32_e64 v26, 0, v97, s0
	v_add_f32_e32 v14, v34, v14
	v_add_nc_u32_e32 v72, 64, v0
	s_delay_alu instid0(VALU_DEP_4) | instskip(NEXT) | instid1(VALU_DEP_4)
	v_dual_add_f32 v34, v35, v27 :: v_dual_max_f32 v25, 0, v25
	v_add_f32_e32 v26, v39, v26
	s_delay_alu instid0(VALU_DEP_4) | instskip(NEXT) | instid1(VALU_DEP_4)
	v_max_f32_e32 v27, 0, v14
	v_cmp_gt_i32_e64 s1, s6, v72
	s_delay_alu instid0(VALU_DEP_1)
	s_and_b32 s0, s1, vcc_lo
	s_waitcnt vmcnt(7)
	v_cndmask_b32_e64 v39, 0, v102, s0
	v_cndmask_b32_e64 v37, 0, v103, s0
	;; [unrolled: 1-line block ×4, first 2 shown]
	s_and_b32 s0, s1, s3
	v_add_f32_e32 v14, v41, v39
	s_waitcnt vmcnt(6)
	v_cndmask_b32_e64 v39, 0, v105, s0
	v_cndmask_b32_e64 v40, 0, v107, s0
	;; [unrolled: 1-line block ×3, first 2 shown]
	v_dual_add_f32 v35, v45, v28 :: v_dual_add_f32 v38, v47, v38
	s_delay_alu instid0(VALU_DEP_4) | instskip(SKIP_1) | instid1(VALU_DEP_4)
	v_add_f32_e32 v39, v65, v39
	v_cmp_gt_i32_e64 s1, s6, v81
	v_add_f32_e32 v41, v60, v41
	v_add_f32_e32 v47, v61, v40
	v_add_nc_u32_e32 v65, 0x42, v0
	v_dual_max_f32 v39, 0, v39 :: v_dual_max_f32 v26, 0, v26
	v_max_f32_e32 v28, 0, v34
	v_max_f32_e32 v34, 0, v35
	v_dual_max_f32 v40, 0, v41 :: v_dual_max_f32 v41, 0, v47
	v_max_f32_e32 v35, 0, v38
	v_cndmask_b32_e64 v38, 0, v104, s0
	s_and_b32 s0, s1, vcc_lo
	v_add_f32_e32 v37, v36, v37
	s_waitcnt vmcnt(5)
	v_cndmask_b32_e64 v45, 0, v109, s0
	v_cndmask_b32_e64 v44, 0, v108, s0
	;; [unrolled: 1-line block ×3, first 2 shown]
	v_max_f32_e32 v37, 0, v37
	s_delay_alu instid0(VALU_DEP_4) | instskip(SKIP_1) | instid1(VALU_DEP_2)
	v_dual_add_f32 v31, v31, v45 :: v_dual_max_f32 v36, 0, v14
	v_add_f32_e32 v14, v63, v38
	v_dual_add_f32 v32, v32, v46 :: v_dual_max_f32 v45, 0, v31
	s_delay_alu instid0(VALU_DEP_2)
	v_max_f32_e32 v38, 0, v14
	v_cndmask_b32_e64 v14, 0, v111, s0
	s_and_b32 s0, s1, s3
	v_cmp_gt_i32_e64 s1, s6, v65
	s_waitcnt vmcnt(4)
	v_cndmask_b32_e64 v31, 0, v115, s0
	v_add_f32_e32 v14, v29, v14
	v_cndmask_b32_e64 v29, 0, v112, s0
	s_delay_alu instid0(VALU_DEP_2) | instskip(SKIP_1) | instid1(VALU_DEP_3)
	v_max_f32_e32 v47, 0, v14
	v_cndmask_b32_e64 v14, 0, v114, s0
	v_dual_add_f32 v29, v48, v29 :: v_dual_add_f32 v48, v51, v31
	s_delay_alu instid0(VALU_DEP_2) | instskip(NEXT) | instid1(VALU_DEP_2)
	v_add_f32_e32 v14, v49, v14
	v_dual_add_f32 v30, v30, v44 :: v_dual_max_f32 v29, 0, v29
	s_delay_alu instid0(VALU_DEP_2) | instskip(NEXT) | instid1(VALU_DEP_2)
	v_max_f32_e32 v31, 0, v14
	v_max_f32_e32 v44, 0, v30
	v_cndmask_b32_e64 v30, 0, v113, s0
	s_and_b32 s0, s1, vcc_lo
	s_waitcnt vmcnt(3)
	v_cndmask_b32_e64 v49, 0, v117, s0
	v_cndmask_b32_e64 v51, 0, v118, s0
	v_add_f32_e32 v30, v50, v30
	v_cndmask_b32_e64 v50, 0, v119, s0
	s_delay_alu instid0(VALU_DEP_4) | instskip(NEXT) | instid1(VALU_DEP_1)
	v_add_f32_e32 v14, v22, v49
	v_dual_add_f32 v22, v23, v51 :: v_dual_max_f32 v49, 0, v14
	s_delay_alu instid0(VALU_DEP_3)
	v_add_f32_e32 v14, v21, v50
	v_max_f32_e32 v46, 0, v32
	v_cndmask_b32_e64 v32, 0, v116, s0
	s_and_b32 s0, s1, s3
	v_cmp_gt_i32_e64 s1, s6, v82
	v_max_f32_e32 v51, 0, v14
	v_max_f32_e32 v50, 0, v22
	s_waitcnt vmcnt(2)
	v_cndmask_b32_e64 v22, 0, v121, s0
	v_cndmask_b32_e64 v14, 0, v122, s0
	s_and_b32 vcc_lo, s1, vcc_lo
	v_cndmask_b32_e64 v23, 0, v123, s0
	s_delay_alu instid0(VALU_DEP_3) | instskip(SKIP_3) | instid1(VALU_DEP_2)
	v_add_f32_e32 v22, v42, v22
	s_waitcnt vmcnt(1)
	v_cndmask_b32_e32 v42, 0, v125, vcc_lo
	v_add_f32_e32 v14, v43, v14
	v_dual_add_f32 v43, v79, v23 :: v_dual_add_f32 v20, v20, v42
	v_cndmask_b32_e32 v42, 0, v126, vcc_lo
	s_delay_alu instid0(VALU_DEP_3) | instskip(SKIP_2) | instid1(VALU_DEP_3)
	v_dual_add_f32 v24, v24, v32 :: v_dual_max_f32 v23, 0, v14
	v_max_f32_e32 v32, 0, v48
	v_mul_lo_u32 v14, v0, s4
	v_dual_add_f32 v17, v17, v42 :: v_dual_max_f32 v48, 0, v24
	v_cndmask_b32_e64 v24, 0, v120, s0
	v_max_f32_e32 v61, 0, v20
	v_cmp_gt_i32_e64 s0, s7, v0
	s_delay_alu instid0(VALU_DEP_3) | instskip(SKIP_4) | instid1(VALU_DEP_2)
	v_dual_max_f32 v62, 0, v17 :: v_dual_add_f32 v21, v33, v24
	v_dual_cndmask_b32 v24, 0, v124 :: v_dual_cndmask_b32 v33, 0, v127
	s_and_b32 vcc_lo, s1, s3
	v_cmp_gt_i32_e64 s1, s9, v15
	s_waitcnt vmcnt(0)
	v_dual_cndmask_b32 v42, 0, v130 :: v_dual_add_f32 v19, v19, v24
	v_add_f32_e32 v18, v18, v33
	v_max_f32_e32 v24, 0, v43
	v_max_f32_e32 v30, 0, v30
	v_cndmask_b32_e32 v20, 0, v131, vcc_lo
	v_dual_max_f32 v60, 0, v19 :: v_dual_cndmask_b32 v19, 0, v129
	v_max_f32_e32 v63, 0, v18
	v_cndmask_b32_e32 v33, 0, v128, vcc_lo
	v_cmp_gt_i32_e32 vcc_lo, s9, v1
	s_lshl_b32 s3, s5, 6
	v_dual_add_f32 v18, v73, v19 :: v_dual_add_f32 v19, v74, v42
	v_mad_u64_u32 v[42:43], null, v1, s5, v[14:15]
	s_and_b32 s6, s0, vcc_lo
	s_and_b32 s0, s0, s1
	v_cndmask_b32_e64 v1, 0x80000000, 0, s6
	v_cndmask_b32_e64 v14, 0x80000000, 0, s0
	s_and_b32 s0, s2, s1
	s_delay_alu instid0(VALU_DEP_3)
	v_dual_add_f32 v17, v71, v33 :: v_dual_add_nc_u32 v0, s3, v42
	v_cndmask_b32_e64 v33, 0x80000000, 0, s0
	v_lshl_add_u32 v1, v42, 2, v1
	v_cmp_gt_i32_e64 s0, s7, v80
	s_and_b32 s2, s2, vcc_lo
	v_add_nc_u32_e32 v15, s4, v0
	v_lshl_add_u32 v0, v0, 2, v14
	v_max_f32_e32 v17, 0, v17
	s_and_b32 s6, s0, vcc_lo
	s_and_b32 s0, s0, s1
	v_lshl_add_u32 v14, v15, 2, v33
	s_clause 0x2
	buffer_store_b128 v[2:5], v1, s[12:15], 0 offen
	buffer_store_b128 v[6:9], v0, s[12:15], 0 offen
	;; [unrolled: 1-line block ×3, first 2 shown]
	v_add_nc_u32_e32 v2, s4, v15
	v_add_nc_u32_e32 v0, s4, v42
	v_cndmask_b32_e64 v1, 0x80000000, 0, s2
	v_cmp_gt_i32_e64 s2, s7, v70
	v_cndmask_b32_e64 v4, 0x80000000, 0, s6
	v_add_nc_u32_e32 v5, s4, v2
	v_add_nc_u32_e32 v3, s4, v0
	v_cndmask_b32_e64 v6, 0x80000000, 0, s0
	s_and_b32 s0, s2, s1
	v_lshl_add_u32 v0, v0, 2, v1
	v_cndmask_b32_e64 v7, 0x80000000, 0, s0
	v_subrev_nc_u32_e32 v8, s3, v5
	v_lshl_add_u32 v1, v3, 2, v4
	s_and_b32 s0, s2, vcc_lo
	v_lshl_add_u32 v2, v2, 2, v6
	v_lshl_add_u32 v3, v5, 2, v7
	v_cndmask_b32_e64 v5, 0x80000000, 0, s0
	v_cmp_gt_i32_e64 s0, s7, v82
	s_add_i32 s2, s5, s4
	v_lshlrev_b32_e32 v4, 2, v8
	s_clause 0x3
	buffer_store_b128 v[10:13], v0, s[12:15], 0 offen
	buffer_store_b128 v[66:69], v1, s[12:15], 0 offen
	;; [unrolled: 1-line block ×4, first 2 shown]
	v_lshl_add_u32 v1, s2, 6, v8
	v_cmp_ge_i32_e64 s2, s7, v82
	s_and_b32 s8, s0, vcc_lo
	s_and_b32 s0, s0, s1
	v_add_f32_e32 v16, v16, v20
	v_add_nc_u32_e32 v0, v4, v5
	v_cndmask_b32_e64 v2, 0x80000000, 0, s8
	v_cndmask_b32_e64 v3, 0x80000000, 0, s0
	v_subrev_nc_u32_e32 v5, s4, v1
	s_and_b32 s0, s2, s1
	s_lshl_b32 s6, s4, 8
	v_cndmask_b32_e64 v6, 0x80000000, 0, s0
	v_cmp_gt_i32_e64 s0, s7, v65
	v_dual_max_f32 v18, 0, v18 :: v_dual_max_f32 v19, 0, v19
	v_max_f32_e32 v20, 0, v16
	v_add3_u32 v2, v2, s6, v4
	buffer_store_b128 v[56:59], v0, s[12:15], 0 offen
	v_lshl_add_u32 v0, v1, 2, v3
	v_subrev_nc_u32_e32 v1, s3, v5
	v_cmp_ge_i32_e64 s2, s7, v65
	s_and_b32 s0, s0, vcc_lo
	v_dual_max_f32 v21, 0, v21 :: v_dual_max_f32 v22, 0, v22
	v_lshl_add_u32 v3, v5, 2, v6
	s_clause 0x1
	buffer_store_b128 v[60:63], v2, s[12:15], 0 offen
	buffer_store_b128 v[17:20], v0, s[12:15], 0 offen
	v_subrev_nc_u32_e32 v0, s4, v1
	v_cndmask_b32_e64 v2, 0x80000000, 0, s0
	v_cmp_gt_i32_e64 s0, s7, v81
	s_and_b32 s2, s2, vcc_lo
	buffer_store_b128 v[21:24], v3, s[12:15], 0 offen
	v_cndmask_b32_e64 v4, 0x80000000, 0, s2
	v_cmp_gt_i32_e64 s2, s7, v72
	v_add_nc_u32_e32 v3, s3, v0
	s_and_b32 s0, s0, s1
	v_lshl_add_u32 v1, v1, 2, v2
	v_cndmask_b32_e64 v6, 0x80000000, 0, s0
	v_cmp_ge_i32_e64 s0, s7, v81
	s_and_b32 s2, s2, vcc_lo
	v_subrev_nc_u32_e32 v5, s4, v3
	v_cndmask_b32_e64 v7, 0x80000000, 0, s2
	s_lshl_b32 s2, s5, 8
	s_and_b32 s0, s0, s1
	v_lshl_add_u32 v0, v0, 2, v4
	v_lshlrev_b32_e32 v5, 2, v5
	v_cndmask_b32_e64 v8, 0x80000000, 0, s0
	v_subrev_nc_u32_e32 v7, s2, v7
	v_lshl_add_u32 v2, v3, 2, v6
	s_delay_alu instid0(VALU_DEP_3) | instskip(NEXT) | instid1(VALU_DEP_3)
	v_add_nc_u32_e32 v3, v5, v8
	v_add_nc_u32_e32 v4, v7, v5
	s_clause 0x4
	buffer_store_b128 v[48:51], v1, s[12:15], 0 offen
	buffer_store_b128 v[44:47], v0, s[12:15], 0 offen
	;; [unrolled: 1-line block ×5, first 2 shown]
	s_nop 0
	s_sendmsg sendmsg(MSG_DEALLOC_VGPRS)
	s_endpgm
	.section	.rodata,"a",@progbits
	.p2align	6, 0x0
	.amdhsa_kernel _ZN2ck16tensor_operation6device12_GLOBAL__N_137kernel_grouped_conv_fwd_dl_multiple_dINS_32GridwiseGemmDlMultipleD_km_kn_mnILi256EffNS_5TupleIJfEEEfNS0_12element_wise11PassThroughES8_NS7_7AddReluELNS_25InMemoryDataOperationEnumE0ENS_16TensorDescriptorINS5_IJNS_5EmbedINS5_IJiiiEEESD_Lb0EEENS_11PassThroughIiEENS_3PadIiiiLb0EEESG_SG_NSC_INS5_IJiiEEESJ_Lb0EEESG_NS_23Merge_v2_magic_divisionISJ_EESM_NS_8RightPadIiiLb0EEESO_NS_7UnMergeISJ_Lb0EEESG_EEENS5_IJNS_8SequenceIJLi0EEEENSS_IJLi1EEEENSS_IJLi2EEEENSS_IJLi3EEEENSS_IJLi4EEEENSS_IJLi5EEEENSS_IJLi6EEEENSS_IJLi7ELi9EEEENSS_IJLi8ELi10EEEENSS_IJLi11EEEENSS_IJLi12EEEENSS_IJLi14EEEENSS_IJLi13EEEEEEENS5_IJNSS_IJLi1ELi2ELi3EEEESX_SY_SZ_NSS_IJLi7EEEENSS_IJLi8ELi9EEEENSS_IJLi10EEEES12_S13_S15_S14_NSS_IJLi15ELi16EEEENSS_IJLi17EEEEEEENSS_IJLi15ELi17ELi16EEEElEENSB_INS5_IJSQ_SO_SO_SQ_SG_EEENS5_IJST_SU_SV_SX_SW_EEENS5_IJNSS_IJLi1ELi2EEEESW_SX_NSS_IJLi5ELi6EEEES18_EEENSS_IJLi5ELi7ELi6EEEElEENSB_INS5_IJSK_SO_SO_EEENS5_IJST_SU_SV_EEENS5_IJS1I_SW_SX_EEENSS_IJLi3ELi4EEEElEELi128ELi128ELi16ELi1ELi4ELi4ELi1ENSS_IJLi8ELi2EEEES1S_NSS_IJLi8ELi1ELi1ELi1EEEENSS_IJLi2ELi1ELi128ELi1EEEENSS_IJLi1ELi2ELi0ELi3EEEES1V_NSS_IJLi4ELi1ELi1ELi1EEEES1V_NSS_IJLi1ELi1ELi1ELi1EEEES1T_S1U_S1V_S1V_S1W_S1V_S1X_NSS_IJLi0ELi1ELi2ELi3ELi4ELi5EEEELi5ELi4EEEfNS5_IJPKfEEEfS8_S8_S9_NSB_INS5_IJSE_SG_SI_SG_SG_SK_SG_SM_SM_SO_SO_SQ_SG_SG_NSP_INS5_IJiNS_17integral_constantIiLi128EEEEEELb0EEENSF_INS23_IiLi1EEEEEEEENS5_IJST_SU_SV_SW_SX_SY_SZ_S10_S11_S12_S13_S14_S15_NSS_IJLi15EEEES1C_NSS_IJLi16EEEEEEENS5_IJS17_SX_SY_SZ_S18_S19_S1A_S12_S13_S15_S14_S1B_S1C_NSS_IJLi18EEEENSS_IJLi19ELi20EEEENSS_IJLi21EEEEEEENSS_IJLi18ELi19ELi20ELi21EEEElEENSB_INS5_IJSQ_SO_SO_SQ_SG_SG_S26_S28_EEENS5_IJST_SU_SV_SX_SW_SY_S18_SZ_EEENS5_IJS1I_SW_SX_S1J_S18_NSS_IJLi8EEEENSS_IJLi9ELi10EEEES12_EEENSS_IJLi8ELi9ELi10ELi11EEEElEENS5_IJNSB_INS5_IJSK_SO_SO_NSP_INS5_IJiNS23_IiLi2EEENS23_IiLi64EEEEEELb0EEES2T_EEENS5_IJST_SU_SV_SW_SX_EEENS5_IJS1I_SW_SX_NSS_IJLi5ELi6ELi7EEEENSS_IJLi8ELi9ELi10EEEEEEENSS_IJLi5ELi6ELi7ELi8ELi9ELi10EEEElEEEEES30_NS_31BlockToCTileMap_M00_N00_M01_N01ILi128ELi128ES1R_Lb0EEENS1_30ComputePtrOffsetOfStridedBatchILi1ELi1ELi1EvEELb0ELb1EEEvPKT0_S38_T1_PT2_T3_T4_T5_iT6_T7_T8_T9_T10_T11_
		.amdhsa_group_segment_fixed_size 32768
		.amdhsa_private_segment_fixed_size 0
		.amdhsa_kernarg_size 904
		.amdhsa_user_sgpr_count 15
		.amdhsa_user_sgpr_dispatch_ptr 0
		.amdhsa_user_sgpr_queue_ptr 0
		.amdhsa_user_sgpr_kernarg_segment_ptr 1
		.amdhsa_user_sgpr_dispatch_id 0
		.amdhsa_user_sgpr_private_segment_size 0
		.amdhsa_wavefront_size32 1
		.amdhsa_uses_dynamic_stack 0
		.amdhsa_enable_private_segment 0
		.amdhsa_system_sgpr_workgroup_id_x 1
		.amdhsa_system_sgpr_workgroup_id_y 0
		.amdhsa_system_sgpr_workgroup_id_z 0
		.amdhsa_system_sgpr_workgroup_info 0
		.amdhsa_system_vgpr_workitem_id 0
		.amdhsa_next_free_vgpr 132
		.amdhsa_next_free_sgpr 48
		.amdhsa_reserve_vcc 1
		.amdhsa_float_round_mode_32 0
		.amdhsa_float_round_mode_16_64 0
		.amdhsa_float_denorm_mode_32 3
		.amdhsa_float_denorm_mode_16_64 3
		.amdhsa_dx10_clamp 1
		.amdhsa_ieee_mode 1
		.amdhsa_fp16_overflow 0
		.amdhsa_workgroup_processor_mode 1
		.amdhsa_memory_ordered 1
		.amdhsa_forward_progress 0
		.amdhsa_shared_vgpr_count 0
		.amdhsa_exception_fp_ieee_invalid_op 0
		.amdhsa_exception_fp_denorm_src 0
		.amdhsa_exception_fp_ieee_div_zero 0
		.amdhsa_exception_fp_ieee_overflow 0
		.amdhsa_exception_fp_ieee_underflow 0
		.amdhsa_exception_fp_ieee_inexact 0
		.amdhsa_exception_int_div_zero 0
	.end_amdhsa_kernel
	.section	.text._ZN2ck16tensor_operation6device12_GLOBAL__N_137kernel_grouped_conv_fwd_dl_multiple_dINS_32GridwiseGemmDlMultipleD_km_kn_mnILi256EffNS_5TupleIJfEEEfNS0_12element_wise11PassThroughES8_NS7_7AddReluELNS_25InMemoryDataOperationEnumE0ENS_16TensorDescriptorINS5_IJNS_5EmbedINS5_IJiiiEEESD_Lb0EEENS_11PassThroughIiEENS_3PadIiiiLb0EEESG_SG_NSC_INS5_IJiiEEESJ_Lb0EEESG_NS_23Merge_v2_magic_divisionISJ_EESM_NS_8RightPadIiiLb0EEESO_NS_7UnMergeISJ_Lb0EEESG_EEENS5_IJNS_8SequenceIJLi0EEEENSS_IJLi1EEEENSS_IJLi2EEEENSS_IJLi3EEEENSS_IJLi4EEEENSS_IJLi5EEEENSS_IJLi6EEEENSS_IJLi7ELi9EEEENSS_IJLi8ELi10EEEENSS_IJLi11EEEENSS_IJLi12EEEENSS_IJLi14EEEENSS_IJLi13EEEEEEENS5_IJNSS_IJLi1ELi2ELi3EEEESX_SY_SZ_NSS_IJLi7EEEENSS_IJLi8ELi9EEEENSS_IJLi10EEEES12_S13_S15_S14_NSS_IJLi15ELi16EEEENSS_IJLi17EEEEEEENSS_IJLi15ELi17ELi16EEEElEENSB_INS5_IJSQ_SO_SO_SQ_SG_EEENS5_IJST_SU_SV_SX_SW_EEENS5_IJNSS_IJLi1ELi2EEEESW_SX_NSS_IJLi5ELi6EEEES18_EEENSS_IJLi5ELi7ELi6EEEElEENSB_INS5_IJSK_SO_SO_EEENS5_IJST_SU_SV_EEENS5_IJS1I_SW_SX_EEENSS_IJLi3ELi4EEEElEELi128ELi128ELi16ELi1ELi4ELi4ELi1ENSS_IJLi8ELi2EEEES1S_NSS_IJLi8ELi1ELi1ELi1EEEENSS_IJLi2ELi1ELi128ELi1EEEENSS_IJLi1ELi2ELi0ELi3EEEES1V_NSS_IJLi4ELi1ELi1ELi1EEEES1V_NSS_IJLi1ELi1ELi1ELi1EEEES1T_S1U_S1V_S1V_S1W_S1V_S1X_NSS_IJLi0ELi1ELi2ELi3ELi4ELi5EEEELi5ELi4EEEfNS5_IJPKfEEEfS8_S8_S9_NSB_INS5_IJSE_SG_SI_SG_SG_SK_SG_SM_SM_SO_SO_SQ_SG_SG_NSP_INS5_IJiNS_17integral_constantIiLi128EEEEEELb0EEENSF_INS23_IiLi1EEEEEEEENS5_IJST_SU_SV_SW_SX_SY_SZ_S10_S11_S12_S13_S14_S15_NSS_IJLi15EEEES1C_NSS_IJLi16EEEEEEENS5_IJS17_SX_SY_SZ_S18_S19_S1A_S12_S13_S15_S14_S1B_S1C_NSS_IJLi18EEEENSS_IJLi19ELi20EEEENSS_IJLi21EEEEEEENSS_IJLi18ELi19ELi20ELi21EEEElEENSB_INS5_IJSQ_SO_SO_SQ_SG_SG_S26_S28_EEENS5_IJST_SU_SV_SX_SW_SY_S18_SZ_EEENS5_IJS1I_SW_SX_S1J_S18_NSS_IJLi8EEEENSS_IJLi9ELi10EEEES12_EEENSS_IJLi8ELi9ELi10ELi11EEEElEENS5_IJNSB_INS5_IJSK_SO_SO_NSP_INS5_IJiNS23_IiLi2EEENS23_IiLi64EEEEEELb0EEES2T_EEENS5_IJST_SU_SV_SW_SX_EEENS5_IJS1I_SW_SX_NSS_IJLi5ELi6ELi7EEEENSS_IJLi8ELi9ELi10EEEEEEENSS_IJLi5ELi6ELi7ELi8ELi9ELi10EEEElEEEEES30_NS_31BlockToCTileMap_M00_N00_M01_N01ILi128ELi128ES1R_Lb0EEENS1_30ComputePtrOffsetOfStridedBatchILi1ELi1ELi1EvEELb0ELb1EEEvPKT0_S38_T1_PT2_T3_T4_T5_iT6_T7_T8_T9_T10_T11_,"axG",@progbits,_ZN2ck16tensor_operation6device12_GLOBAL__N_137kernel_grouped_conv_fwd_dl_multiple_dINS_32GridwiseGemmDlMultipleD_km_kn_mnILi256EffNS_5TupleIJfEEEfNS0_12element_wise11PassThroughES8_NS7_7AddReluELNS_25InMemoryDataOperationEnumE0ENS_16TensorDescriptorINS5_IJNS_5EmbedINS5_IJiiiEEESD_Lb0EEENS_11PassThroughIiEENS_3PadIiiiLb0EEESG_SG_NSC_INS5_IJiiEEESJ_Lb0EEESG_NS_23Merge_v2_magic_divisionISJ_EESM_NS_8RightPadIiiLb0EEESO_NS_7UnMergeISJ_Lb0EEESG_EEENS5_IJNS_8SequenceIJLi0EEEENSS_IJLi1EEEENSS_IJLi2EEEENSS_IJLi3EEEENSS_IJLi4EEEENSS_IJLi5EEEENSS_IJLi6EEEENSS_IJLi7ELi9EEEENSS_IJLi8ELi10EEEENSS_IJLi11EEEENSS_IJLi12EEEENSS_IJLi14EEEENSS_IJLi13EEEEEEENS5_IJNSS_IJLi1ELi2ELi3EEEESX_SY_SZ_NSS_IJLi7EEEENSS_IJLi8ELi9EEEENSS_IJLi10EEEES12_S13_S15_S14_NSS_IJLi15ELi16EEEENSS_IJLi17EEEEEEENSS_IJLi15ELi17ELi16EEEElEENSB_INS5_IJSQ_SO_SO_SQ_SG_EEENS5_IJST_SU_SV_SX_SW_EEENS5_IJNSS_IJLi1ELi2EEEESW_SX_NSS_IJLi5ELi6EEEES18_EEENSS_IJLi5ELi7ELi6EEEElEENSB_INS5_IJSK_SO_SO_EEENS5_IJST_SU_SV_EEENS5_IJS1I_SW_SX_EEENSS_IJLi3ELi4EEEElEELi128ELi128ELi16ELi1ELi4ELi4ELi1ENSS_IJLi8ELi2EEEES1S_NSS_IJLi8ELi1ELi1ELi1EEEENSS_IJLi2ELi1ELi128ELi1EEEENSS_IJLi1ELi2ELi0ELi3EEEES1V_NSS_IJLi4ELi1ELi1ELi1EEEES1V_NSS_IJLi1ELi1ELi1ELi1EEEES1T_S1U_S1V_S1V_S1W_S1V_S1X_NSS_IJLi0ELi1ELi2ELi3ELi4ELi5EEEELi5ELi4EEEfNS5_IJPKfEEEfS8_S8_S9_NSB_INS5_IJSE_SG_SI_SG_SG_SK_SG_SM_SM_SO_SO_SQ_SG_SG_NSP_INS5_IJiNS_17integral_constantIiLi128EEEEEELb0EEENSF_INS23_IiLi1EEEEEEEENS5_IJST_SU_SV_SW_SX_SY_SZ_S10_S11_S12_S13_S14_S15_NSS_IJLi15EEEES1C_NSS_IJLi16EEEEEEENS5_IJS17_SX_SY_SZ_S18_S19_S1A_S12_S13_S15_S14_S1B_S1C_NSS_IJLi18EEEENSS_IJLi19ELi20EEEENSS_IJLi21EEEEEEENSS_IJLi18ELi19ELi20ELi21EEEElEENSB_INS5_IJSQ_SO_SO_SQ_SG_SG_S26_S28_EEENS5_IJST_SU_SV_SX_SW_SY_S18_SZ_EEENS5_IJS1I_SW_SX_S1J_S18_NSS_IJLi8EEEENSS_IJLi9ELi10EEEES12_EEENSS_IJLi8ELi9ELi10ELi11EEEElEENS5_IJNSB_INS5_IJSK_SO_SO_NSP_INS5_IJiNS23_IiLi2EEENS23_IiLi64EEEEEELb0EEES2T_EEENS5_IJST_SU_SV_SW_SX_EEENS5_IJS1I_SW_SX_NSS_IJLi5ELi6ELi7EEEENSS_IJLi8ELi9ELi10EEEEEEENSS_IJLi5ELi6ELi7ELi8ELi9ELi10EEEElEEEEES30_NS_31BlockToCTileMap_M00_N00_M01_N01ILi128ELi128ES1R_Lb0EEENS1_30ComputePtrOffsetOfStridedBatchILi1ELi1ELi1EvEELb0ELb1EEEvPKT0_S38_T1_PT2_T3_T4_T5_iT6_T7_T8_T9_T10_T11_,comdat
.Lfunc_end5:
	.size	_ZN2ck16tensor_operation6device12_GLOBAL__N_137kernel_grouped_conv_fwd_dl_multiple_dINS_32GridwiseGemmDlMultipleD_km_kn_mnILi256EffNS_5TupleIJfEEEfNS0_12element_wise11PassThroughES8_NS7_7AddReluELNS_25InMemoryDataOperationEnumE0ENS_16TensorDescriptorINS5_IJNS_5EmbedINS5_IJiiiEEESD_Lb0EEENS_11PassThroughIiEENS_3PadIiiiLb0EEESG_SG_NSC_INS5_IJiiEEESJ_Lb0EEESG_NS_23Merge_v2_magic_divisionISJ_EESM_NS_8RightPadIiiLb0EEESO_NS_7UnMergeISJ_Lb0EEESG_EEENS5_IJNS_8SequenceIJLi0EEEENSS_IJLi1EEEENSS_IJLi2EEEENSS_IJLi3EEEENSS_IJLi4EEEENSS_IJLi5EEEENSS_IJLi6EEEENSS_IJLi7ELi9EEEENSS_IJLi8ELi10EEEENSS_IJLi11EEEENSS_IJLi12EEEENSS_IJLi14EEEENSS_IJLi13EEEEEEENS5_IJNSS_IJLi1ELi2ELi3EEEESX_SY_SZ_NSS_IJLi7EEEENSS_IJLi8ELi9EEEENSS_IJLi10EEEES12_S13_S15_S14_NSS_IJLi15ELi16EEEENSS_IJLi17EEEEEEENSS_IJLi15ELi17ELi16EEEElEENSB_INS5_IJSQ_SO_SO_SQ_SG_EEENS5_IJST_SU_SV_SX_SW_EEENS5_IJNSS_IJLi1ELi2EEEESW_SX_NSS_IJLi5ELi6EEEES18_EEENSS_IJLi5ELi7ELi6EEEElEENSB_INS5_IJSK_SO_SO_EEENS5_IJST_SU_SV_EEENS5_IJS1I_SW_SX_EEENSS_IJLi3ELi4EEEElEELi128ELi128ELi16ELi1ELi4ELi4ELi1ENSS_IJLi8ELi2EEEES1S_NSS_IJLi8ELi1ELi1ELi1EEEENSS_IJLi2ELi1ELi128ELi1EEEENSS_IJLi1ELi2ELi0ELi3EEEES1V_NSS_IJLi4ELi1ELi1ELi1EEEES1V_NSS_IJLi1ELi1ELi1ELi1EEEES1T_S1U_S1V_S1V_S1W_S1V_S1X_NSS_IJLi0ELi1ELi2ELi3ELi4ELi5EEEELi5ELi4EEEfNS5_IJPKfEEEfS8_S8_S9_NSB_INS5_IJSE_SG_SI_SG_SG_SK_SG_SM_SM_SO_SO_SQ_SG_SG_NSP_INS5_IJiNS_17integral_constantIiLi128EEEEEELb0EEENSF_INS23_IiLi1EEEEEEEENS5_IJST_SU_SV_SW_SX_SY_SZ_S10_S11_S12_S13_S14_S15_NSS_IJLi15EEEES1C_NSS_IJLi16EEEEEEENS5_IJS17_SX_SY_SZ_S18_S19_S1A_S12_S13_S15_S14_S1B_S1C_NSS_IJLi18EEEENSS_IJLi19ELi20EEEENSS_IJLi21EEEEEEENSS_IJLi18ELi19ELi20ELi21EEEElEENSB_INS5_IJSQ_SO_SO_SQ_SG_SG_S26_S28_EEENS5_IJST_SU_SV_SX_SW_SY_S18_SZ_EEENS5_IJS1I_SW_SX_S1J_S18_NSS_IJLi8EEEENSS_IJLi9ELi10EEEES12_EEENSS_IJLi8ELi9ELi10ELi11EEEElEENS5_IJNSB_INS5_IJSK_SO_SO_NSP_INS5_IJiNS23_IiLi2EEENS23_IiLi64EEEEEELb0EEES2T_EEENS5_IJST_SU_SV_SW_SX_EEENS5_IJS1I_SW_SX_NSS_IJLi5ELi6ELi7EEEENSS_IJLi8ELi9ELi10EEEEEEENSS_IJLi5ELi6ELi7ELi8ELi9ELi10EEEElEEEEES30_NS_31BlockToCTileMap_M00_N00_M01_N01ILi128ELi128ES1R_Lb0EEENS1_30ComputePtrOffsetOfStridedBatchILi1ELi1ELi1EvEELb0ELb1EEEvPKT0_S38_T1_PT2_T3_T4_T5_iT6_T7_T8_T9_T10_T11_, .Lfunc_end5-_ZN2ck16tensor_operation6device12_GLOBAL__N_137kernel_grouped_conv_fwd_dl_multiple_dINS_32GridwiseGemmDlMultipleD_km_kn_mnILi256EffNS_5TupleIJfEEEfNS0_12element_wise11PassThroughES8_NS7_7AddReluELNS_25InMemoryDataOperationEnumE0ENS_16TensorDescriptorINS5_IJNS_5EmbedINS5_IJiiiEEESD_Lb0EEENS_11PassThroughIiEENS_3PadIiiiLb0EEESG_SG_NSC_INS5_IJiiEEESJ_Lb0EEESG_NS_23Merge_v2_magic_divisionISJ_EESM_NS_8RightPadIiiLb0EEESO_NS_7UnMergeISJ_Lb0EEESG_EEENS5_IJNS_8SequenceIJLi0EEEENSS_IJLi1EEEENSS_IJLi2EEEENSS_IJLi3EEEENSS_IJLi4EEEENSS_IJLi5EEEENSS_IJLi6EEEENSS_IJLi7ELi9EEEENSS_IJLi8ELi10EEEENSS_IJLi11EEEENSS_IJLi12EEEENSS_IJLi14EEEENSS_IJLi13EEEEEEENS5_IJNSS_IJLi1ELi2ELi3EEEESX_SY_SZ_NSS_IJLi7EEEENSS_IJLi8ELi9EEEENSS_IJLi10EEEES12_S13_S15_S14_NSS_IJLi15ELi16EEEENSS_IJLi17EEEEEEENSS_IJLi15ELi17ELi16EEEElEENSB_INS5_IJSQ_SO_SO_SQ_SG_EEENS5_IJST_SU_SV_SX_SW_EEENS5_IJNSS_IJLi1ELi2EEEESW_SX_NSS_IJLi5ELi6EEEES18_EEENSS_IJLi5ELi7ELi6EEEElEENSB_INS5_IJSK_SO_SO_EEENS5_IJST_SU_SV_EEENS5_IJS1I_SW_SX_EEENSS_IJLi3ELi4EEEElEELi128ELi128ELi16ELi1ELi4ELi4ELi1ENSS_IJLi8ELi2EEEES1S_NSS_IJLi8ELi1ELi1ELi1EEEENSS_IJLi2ELi1ELi128ELi1EEEENSS_IJLi1ELi2ELi0ELi3EEEES1V_NSS_IJLi4ELi1ELi1ELi1EEEES1V_NSS_IJLi1ELi1ELi1ELi1EEEES1T_S1U_S1V_S1V_S1W_S1V_S1X_NSS_IJLi0ELi1ELi2ELi3ELi4ELi5EEEELi5ELi4EEEfNS5_IJPKfEEEfS8_S8_S9_NSB_INS5_IJSE_SG_SI_SG_SG_SK_SG_SM_SM_SO_SO_SQ_SG_SG_NSP_INS5_IJiNS_17integral_constantIiLi128EEEEEELb0EEENSF_INS23_IiLi1EEEEEEEENS5_IJST_SU_SV_SW_SX_SY_SZ_S10_S11_S12_S13_S14_S15_NSS_IJLi15EEEES1C_NSS_IJLi16EEEEEEENS5_IJS17_SX_SY_SZ_S18_S19_S1A_S12_S13_S15_S14_S1B_S1C_NSS_IJLi18EEEENSS_IJLi19ELi20EEEENSS_IJLi21EEEEEEENSS_IJLi18ELi19ELi20ELi21EEEElEENSB_INS5_IJSQ_SO_SO_SQ_SG_SG_S26_S28_EEENS5_IJST_SU_SV_SX_SW_SY_S18_SZ_EEENS5_IJS1I_SW_SX_S1J_S18_NSS_IJLi8EEEENSS_IJLi9ELi10EEEES12_EEENSS_IJLi8ELi9ELi10ELi11EEEElEENS5_IJNSB_INS5_IJSK_SO_SO_NSP_INS5_IJiNS23_IiLi2EEENS23_IiLi64EEEEEELb0EEES2T_EEENS5_IJST_SU_SV_SW_SX_EEENS5_IJS1I_SW_SX_NSS_IJLi5ELi6ELi7EEEENSS_IJLi8ELi9ELi10EEEEEEENSS_IJLi5ELi6ELi7ELi8ELi9ELi10EEEElEEEEES30_NS_31BlockToCTileMap_M00_N00_M01_N01ILi128ELi128ES1R_Lb0EEENS1_30ComputePtrOffsetOfStridedBatchILi1ELi1ELi1EvEELb0ELb1EEEvPKT0_S38_T1_PT2_T3_T4_T5_iT6_T7_T8_T9_T10_T11_
                                        ; -- End function
	.section	.AMDGPU.csdata,"",@progbits
; Kernel info:
; codeLenInByte = 47088
; NumSgprs: 50
; NumVgprs: 132
; ScratchSize: 0
; MemoryBound: 0
; FloatMode: 240
; IeeeMode: 1
; LDSByteSize: 32768 bytes/workgroup (compile time only)
; SGPRBlocks: 6
; VGPRBlocks: 16
; NumSGPRsForWavesPerEU: 50
; NumVGPRsForWavesPerEU: 132
; Occupancy: 8
; WaveLimiterHint : 0
; COMPUTE_PGM_RSRC2:SCRATCH_EN: 0
; COMPUTE_PGM_RSRC2:USER_SGPR: 15
; COMPUTE_PGM_RSRC2:TRAP_HANDLER: 0
; COMPUTE_PGM_RSRC2:TGID_X_EN: 1
; COMPUTE_PGM_RSRC2:TGID_Y_EN: 0
; COMPUTE_PGM_RSRC2:TGID_Z_EN: 0
; COMPUTE_PGM_RSRC2:TIDIG_COMP_CNT: 0
	.section	.text._ZN2ck16tensor_operation6device12_GLOBAL__N_137kernel_grouped_conv_fwd_dl_multiple_dINS_32GridwiseGemmDlMultipleD_km_kn_mnILi256EffNS_5TupleIJfEEEfNS0_12element_wise11PassThroughES8_NS7_7AddReluELNS_25InMemoryDataOperationEnumE0ENS_16TensorDescriptorINS5_IJNS_5EmbedINS5_IJiiiEEESD_Lb0EEENS_11PassThroughIiEENS_3PadIiiiLb0EEESG_SG_NSC_INS5_IJiiEEESJ_Lb0EEESG_NS_23Merge_v2_magic_divisionISJ_EESM_NS_8RightPadIiiLb0EEESO_NS_7UnMergeISJ_Lb0EEESG_EEENS5_IJNS_8SequenceIJLi0EEEENSS_IJLi1EEEENSS_IJLi2EEEENSS_IJLi3EEEENSS_IJLi4EEEENSS_IJLi5EEEENSS_IJLi6EEEENSS_IJLi7ELi9EEEENSS_IJLi8ELi10EEEENSS_IJLi11EEEENSS_IJLi12EEEENSS_IJLi14EEEENSS_IJLi13EEEEEEENS5_IJNSS_IJLi1ELi2ELi3EEEESX_SY_SZ_NSS_IJLi7EEEENSS_IJLi8ELi9EEEENSS_IJLi10EEEES12_S13_S15_S14_NSS_IJLi15ELi16EEEENSS_IJLi17EEEEEEENSS_IJLi15ELi17ELi16EEEElEENSB_INS5_IJSQ_SO_SO_SQ_SG_EEENS5_IJST_SU_SV_SX_SW_EEENS5_IJNSS_IJLi1ELi2EEEESW_SX_NSS_IJLi5ELi6EEEES18_EEENSS_IJLi5ELi7ELi6EEEElEENSB_INS5_IJSK_SO_SO_EEENS5_IJST_SU_SV_EEENS5_IJS1I_SW_SX_EEENSS_IJLi3ELi4EEEElEELi128ELi128ELi16ELi1ELi4ELi4ELi1ENSS_IJLi8ELi2EEEES1S_NSS_IJLi8ELi1ELi1ELi1EEEENSS_IJLi2ELi1ELi128ELi1EEEENSS_IJLi1ELi2ELi0ELi3EEEES1V_NSS_IJLi4ELi1ELi1ELi1EEEES1V_NSS_IJLi1ELi1ELi1ELi1EEEES1T_S1U_S1V_S1V_S1W_S1V_S1X_NSS_IJLi0ELi1ELi2ELi3ELi4ELi5EEEELi5ELi4EEEfNS5_IJPKfEEEfS8_S8_S9_NSB_INS5_IJSE_SG_SI_SG_SG_SK_SG_SM_SM_SO_SO_SQ_SG_SG_NSP_INS5_IJiNS_17integral_constantIiLi128EEEEEELb0EEENSF_INS23_IiLi1EEEEEEEENS5_IJST_SU_SV_SW_SX_SY_SZ_S10_S11_S12_S13_S14_S15_NSS_IJLi15EEEES1C_NSS_IJLi16EEEEEEENS5_IJS17_SX_SY_SZ_S18_S19_S1A_S12_S13_S15_S14_S1B_S1C_NSS_IJLi18EEEENSS_IJLi19ELi20EEEENSS_IJLi21EEEEEEENSS_IJLi18ELi19ELi20ELi21EEEElEENSB_INS5_IJSQ_SO_SO_SQ_SG_SG_S26_S28_EEENS5_IJST_SU_SV_SX_SW_SY_S18_SZ_EEENS5_IJS1I_SW_SX_S1J_S18_NSS_IJLi8EEEENSS_IJLi9ELi10EEEES12_EEENSS_IJLi8ELi9ELi10ELi11EEEElEENS5_IJNSB_INS5_IJSK_SO_SO_NSP_INS5_IJiNS23_IiLi2EEENS23_IiLi64EEEEEELb0EEES2T_EEENS5_IJST_SU_SV_SW_SX_EEENS5_IJS1I_SW_SX_NSS_IJLi5ELi6ELi7EEEENSS_IJLi8ELi9ELi10EEEEEEENSS_IJLi5ELi6ELi7ELi8ELi9ELi10EEEElEEEEES30_NS_31BlockToCTileMap_M00_N00_M01_N01ILi128ELi128ES1R_Lb0EEENS1_30ComputePtrOffsetOfStridedBatchILi1ELi1ELi1EvEELb0ELb0EEEvPKT0_S38_T1_PT2_T3_T4_T5_iT6_T7_T8_T9_T10_T11_,"axG",@progbits,_ZN2ck16tensor_operation6device12_GLOBAL__N_137kernel_grouped_conv_fwd_dl_multiple_dINS_32GridwiseGemmDlMultipleD_km_kn_mnILi256EffNS_5TupleIJfEEEfNS0_12element_wise11PassThroughES8_NS7_7AddReluELNS_25InMemoryDataOperationEnumE0ENS_16TensorDescriptorINS5_IJNS_5EmbedINS5_IJiiiEEESD_Lb0EEENS_11PassThroughIiEENS_3PadIiiiLb0EEESG_SG_NSC_INS5_IJiiEEESJ_Lb0EEESG_NS_23Merge_v2_magic_divisionISJ_EESM_NS_8RightPadIiiLb0EEESO_NS_7UnMergeISJ_Lb0EEESG_EEENS5_IJNS_8SequenceIJLi0EEEENSS_IJLi1EEEENSS_IJLi2EEEENSS_IJLi3EEEENSS_IJLi4EEEENSS_IJLi5EEEENSS_IJLi6EEEENSS_IJLi7ELi9EEEENSS_IJLi8ELi10EEEENSS_IJLi11EEEENSS_IJLi12EEEENSS_IJLi14EEEENSS_IJLi13EEEEEEENS5_IJNSS_IJLi1ELi2ELi3EEEESX_SY_SZ_NSS_IJLi7EEEENSS_IJLi8ELi9EEEENSS_IJLi10EEEES12_S13_S15_S14_NSS_IJLi15ELi16EEEENSS_IJLi17EEEEEEENSS_IJLi15ELi17ELi16EEEElEENSB_INS5_IJSQ_SO_SO_SQ_SG_EEENS5_IJST_SU_SV_SX_SW_EEENS5_IJNSS_IJLi1ELi2EEEESW_SX_NSS_IJLi5ELi6EEEES18_EEENSS_IJLi5ELi7ELi6EEEElEENSB_INS5_IJSK_SO_SO_EEENS5_IJST_SU_SV_EEENS5_IJS1I_SW_SX_EEENSS_IJLi3ELi4EEEElEELi128ELi128ELi16ELi1ELi4ELi4ELi1ENSS_IJLi8ELi2EEEES1S_NSS_IJLi8ELi1ELi1ELi1EEEENSS_IJLi2ELi1ELi128ELi1EEEENSS_IJLi1ELi2ELi0ELi3EEEES1V_NSS_IJLi4ELi1ELi1ELi1EEEES1V_NSS_IJLi1ELi1ELi1ELi1EEEES1T_S1U_S1V_S1V_S1W_S1V_S1X_NSS_IJLi0ELi1ELi2ELi3ELi4ELi5EEEELi5ELi4EEEfNS5_IJPKfEEEfS8_S8_S9_NSB_INS5_IJSE_SG_SI_SG_SG_SK_SG_SM_SM_SO_SO_SQ_SG_SG_NSP_INS5_IJiNS_17integral_constantIiLi128EEEEEELb0EEENSF_INS23_IiLi1EEEEEEEENS5_IJST_SU_SV_SW_SX_SY_SZ_S10_S11_S12_S13_S14_S15_NSS_IJLi15EEEES1C_NSS_IJLi16EEEEEEENS5_IJS17_SX_SY_SZ_S18_S19_S1A_S12_S13_S15_S14_S1B_S1C_NSS_IJLi18EEEENSS_IJLi19ELi20EEEENSS_IJLi21EEEEEEENSS_IJLi18ELi19ELi20ELi21EEEElEENSB_INS5_IJSQ_SO_SO_SQ_SG_SG_S26_S28_EEENS5_IJST_SU_SV_SX_SW_SY_S18_SZ_EEENS5_IJS1I_SW_SX_S1J_S18_NSS_IJLi8EEEENSS_IJLi9ELi10EEEES12_EEENSS_IJLi8ELi9ELi10ELi11EEEElEENS5_IJNSB_INS5_IJSK_SO_SO_NSP_INS5_IJiNS23_IiLi2EEENS23_IiLi64EEEEEELb0EEES2T_EEENS5_IJST_SU_SV_SW_SX_EEENS5_IJS1I_SW_SX_NSS_IJLi5ELi6ELi7EEEENSS_IJLi8ELi9ELi10EEEEEEENSS_IJLi5ELi6ELi7ELi8ELi9ELi10EEEElEEEEES30_NS_31BlockToCTileMap_M00_N00_M01_N01ILi128ELi128ES1R_Lb0EEENS1_30ComputePtrOffsetOfStridedBatchILi1ELi1ELi1EvEELb0ELb0EEEvPKT0_S38_T1_PT2_T3_T4_T5_iT6_T7_T8_T9_T10_T11_,comdat
	.globl	_ZN2ck16tensor_operation6device12_GLOBAL__N_137kernel_grouped_conv_fwd_dl_multiple_dINS_32GridwiseGemmDlMultipleD_km_kn_mnILi256EffNS_5TupleIJfEEEfNS0_12element_wise11PassThroughES8_NS7_7AddReluELNS_25InMemoryDataOperationEnumE0ENS_16TensorDescriptorINS5_IJNS_5EmbedINS5_IJiiiEEESD_Lb0EEENS_11PassThroughIiEENS_3PadIiiiLb0EEESG_SG_NSC_INS5_IJiiEEESJ_Lb0EEESG_NS_23Merge_v2_magic_divisionISJ_EESM_NS_8RightPadIiiLb0EEESO_NS_7UnMergeISJ_Lb0EEESG_EEENS5_IJNS_8SequenceIJLi0EEEENSS_IJLi1EEEENSS_IJLi2EEEENSS_IJLi3EEEENSS_IJLi4EEEENSS_IJLi5EEEENSS_IJLi6EEEENSS_IJLi7ELi9EEEENSS_IJLi8ELi10EEEENSS_IJLi11EEEENSS_IJLi12EEEENSS_IJLi14EEEENSS_IJLi13EEEEEEENS5_IJNSS_IJLi1ELi2ELi3EEEESX_SY_SZ_NSS_IJLi7EEEENSS_IJLi8ELi9EEEENSS_IJLi10EEEES12_S13_S15_S14_NSS_IJLi15ELi16EEEENSS_IJLi17EEEEEEENSS_IJLi15ELi17ELi16EEEElEENSB_INS5_IJSQ_SO_SO_SQ_SG_EEENS5_IJST_SU_SV_SX_SW_EEENS5_IJNSS_IJLi1ELi2EEEESW_SX_NSS_IJLi5ELi6EEEES18_EEENSS_IJLi5ELi7ELi6EEEElEENSB_INS5_IJSK_SO_SO_EEENS5_IJST_SU_SV_EEENS5_IJS1I_SW_SX_EEENSS_IJLi3ELi4EEEElEELi128ELi128ELi16ELi1ELi4ELi4ELi1ENSS_IJLi8ELi2EEEES1S_NSS_IJLi8ELi1ELi1ELi1EEEENSS_IJLi2ELi1ELi128ELi1EEEENSS_IJLi1ELi2ELi0ELi3EEEES1V_NSS_IJLi4ELi1ELi1ELi1EEEES1V_NSS_IJLi1ELi1ELi1ELi1EEEES1T_S1U_S1V_S1V_S1W_S1V_S1X_NSS_IJLi0ELi1ELi2ELi3ELi4ELi5EEEELi5ELi4EEEfNS5_IJPKfEEEfS8_S8_S9_NSB_INS5_IJSE_SG_SI_SG_SG_SK_SG_SM_SM_SO_SO_SQ_SG_SG_NSP_INS5_IJiNS_17integral_constantIiLi128EEEEEELb0EEENSF_INS23_IiLi1EEEEEEEENS5_IJST_SU_SV_SW_SX_SY_SZ_S10_S11_S12_S13_S14_S15_NSS_IJLi15EEEES1C_NSS_IJLi16EEEEEEENS5_IJS17_SX_SY_SZ_S18_S19_S1A_S12_S13_S15_S14_S1B_S1C_NSS_IJLi18EEEENSS_IJLi19ELi20EEEENSS_IJLi21EEEEEEENSS_IJLi18ELi19ELi20ELi21EEEElEENSB_INS5_IJSQ_SO_SO_SQ_SG_SG_S26_S28_EEENS5_IJST_SU_SV_SX_SW_SY_S18_SZ_EEENS5_IJS1I_SW_SX_S1J_S18_NSS_IJLi8EEEENSS_IJLi9ELi10EEEES12_EEENSS_IJLi8ELi9ELi10ELi11EEEElEENS5_IJNSB_INS5_IJSK_SO_SO_NSP_INS5_IJiNS23_IiLi2EEENS23_IiLi64EEEEEELb0EEES2T_EEENS5_IJST_SU_SV_SW_SX_EEENS5_IJS1I_SW_SX_NSS_IJLi5ELi6ELi7EEEENSS_IJLi8ELi9ELi10EEEEEEENSS_IJLi5ELi6ELi7ELi8ELi9ELi10EEEElEEEEES30_NS_31BlockToCTileMap_M00_N00_M01_N01ILi128ELi128ES1R_Lb0EEENS1_30ComputePtrOffsetOfStridedBatchILi1ELi1ELi1EvEELb0ELb0EEEvPKT0_S38_T1_PT2_T3_T4_T5_iT6_T7_T8_T9_T10_T11_ ; -- Begin function _ZN2ck16tensor_operation6device12_GLOBAL__N_137kernel_grouped_conv_fwd_dl_multiple_dINS_32GridwiseGemmDlMultipleD_km_kn_mnILi256EffNS_5TupleIJfEEEfNS0_12element_wise11PassThroughES8_NS7_7AddReluELNS_25InMemoryDataOperationEnumE0ENS_16TensorDescriptorINS5_IJNS_5EmbedINS5_IJiiiEEESD_Lb0EEENS_11PassThroughIiEENS_3PadIiiiLb0EEESG_SG_NSC_INS5_IJiiEEESJ_Lb0EEESG_NS_23Merge_v2_magic_divisionISJ_EESM_NS_8RightPadIiiLb0EEESO_NS_7UnMergeISJ_Lb0EEESG_EEENS5_IJNS_8SequenceIJLi0EEEENSS_IJLi1EEEENSS_IJLi2EEEENSS_IJLi3EEEENSS_IJLi4EEEENSS_IJLi5EEEENSS_IJLi6EEEENSS_IJLi7ELi9EEEENSS_IJLi8ELi10EEEENSS_IJLi11EEEENSS_IJLi12EEEENSS_IJLi14EEEENSS_IJLi13EEEEEEENS5_IJNSS_IJLi1ELi2ELi3EEEESX_SY_SZ_NSS_IJLi7EEEENSS_IJLi8ELi9EEEENSS_IJLi10EEEES12_S13_S15_S14_NSS_IJLi15ELi16EEEENSS_IJLi17EEEEEEENSS_IJLi15ELi17ELi16EEEElEENSB_INS5_IJSQ_SO_SO_SQ_SG_EEENS5_IJST_SU_SV_SX_SW_EEENS5_IJNSS_IJLi1ELi2EEEESW_SX_NSS_IJLi5ELi6EEEES18_EEENSS_IJLi5ELi7ELi6EEEElEENSB_INS5_IJSK_SO_SO_EEENS5_IJST_SU_SV_EEENS5_IJS1I_SW_SX_EEENSS_IJLi3ELi4EEEElEELi128ELi128ELi16ELi1ELi4ELi4ELi1ENSS_IJLi8ELi2EEEES1S_NSS_IJLi8ELi1ELi1ELi1EEEENSS_IJLi2ELi1ELi128ELi1EEEENSS_IJLi1ELi2ELi0ELi3EEEES1V_NSS_IJLi4ELi1ELi1ELi1EEEES1V_NSS_IJLi1ELi1ELi1ELi1EEEES1T_S1U_S1V_S1V_S1W_S1V_S1X_NSS_IJLi0ELi1ELi2ELi3ELi4ELi5EEEELi5ELi4EEEfNS5_IJPKfEEEfS8_S8_S9_NSB_INS5_IJSE_SG_SI_SG_SG_SK_SG_SM_SM_SO_SO_SQ_SG_SG_NSP_INS5_IJiNS_17integral_constantIiLi128EEEEEELb0EEENSF_INS23_IiLi1EEEEEEEENS5_IJST_SU_SV_SW_SX_SY_SZ_S10_S11_S12_S13_S14_S15_NSS_IJLi15EEEES1C_NSS_IJLi16EEEEEEENS5_IJS17_SX_SY_SZ_S18_S19_S1A_S12_S13_S15_S14_S1B_S1C_NSS_IJLi18EEEENSS_IJLi19ELi20EEEENSS_IJLi21EEEEEEENSS_IJLi18ELi19ELi20ELi21EEEElEENSB_INS5_IJSQ_SO_SO_SQ_SG_SG_S26_S28_EEENS5_IJST_SU_SV_SX_SW_SY_S18_SZ_EEENS5_IJS1I_SW_SX_S1J_S18_NSS_IJLi8EEEENSS_IJLi9ELi10EEEES12_EEENSS_IJLi8ELi9ELi10ELi11EEEElEENS5_IJNSB_INS5_IJSK_SO_SO_NSP_INS5_IJiNS23_IiLi2EEENS23_IiLi64EEEEEELb0EEES2T_EEENS5_IJST_SU_SV_SW_SX_EEENS5_IJS1I_SW_SX_NSS_IJLi5ELi6ELi7EEEENSS_IJLi8ELi9ELi10EEEEEEENSS_IJLi5ELi6ELi7ELi8ELi9ELi10EEEElEEEEES30_NS_31BlockToCTileMap_M00_N00_M01_N01ILi128ELi128ES1R_Lb0EEENS1_30ComputePtrOffsetOfStridedBatchILi1ELi1ELi1EvEELb0ELb0EEEvPKT0_S38_T1_PT2_T3_T4_T5_iT6_T7_T8_T9_T10_T11_
	.p2align	8
	.type	_ZN2ck16tensor_operation6device12_GLOBAL__N_137kernel_grouped_conv_fwd_dl_multiple_dINS_32GridwiseGemmDlMultipleD_km_kn_mnILi256EffNS_5TupleIJfEEEfNS0_12element_wise11PassThroughES8_NS7_7AddReluELNS_25InMemoryDataOperationEnumE0ENS_16TensorDescriptorINS5_IJNS_5EmbedINS5_IJiiiEEESD_Lb0EEENS_11PassThroughIiEENS_3PadIiiiLb0EEESG_SG_NSC_INS5_IJiiEEESJ_Lb0EEESG_NS_23Merge_v2_magic_divisionISJ_EESM_NS_8RightPadIiiLb0EEESO_NS_7UnMergeISJ_Lb0EEESG_EEENS5_IJNS_8SequenceIJLi0EEEENSS_IJLi1EEEENSS_IJLi2EEEENSS_IJLi3EEEENSS_IJLi4EEEENSS_IJLi5EEEENSS_IJLi6EEEENSS_IJLi7ELi9EEEENSS_IJLi8ELi10EEEENSS_IJLi11EEEENSS_IJLi12EEEENSS_IJLi14EEEENSS_IJLi13EEEEEEENS5_IJNSS_IJLi1ELi2ELi3EEEESX_SY_SZ_NSS_IJLi7EEEENSS_IJLi8ELi9EEEENSS_IJLi10EEEES12_S13_S15_S14_NSS_IJLi15ELi16EEEENSS_IJLi17EEEEEEENSS_IJLi15ELi17ELi16EEEElEENSB_INS5_IJSQ_SO_SO_SQ_SG_EEENS5_IJST_SU_SV_SX_SW_EEENS5_IJNSS_IJLi1ELi2EEEESW_SX_NSS_IJLi5ELi6EEEES18_EEENSS_IJLi5ELi7ELi6EEEElEENSB_INS5_IJSK_SO_SO_EEENS5_IJST_SU_SV_EEENS5_IJS1I_SW_SX_EEENSS_IJLi3ELi4EEEElEELi128ELi128ELi16ELi1ELi4ELi4ELi1ENSS_IJLi8ELi2EEEES1S_NSS_IJLi8ELi1ELi1ELi1EEEENSS_IJLi2ELi1ELi128ELi1EEEENSS_IJLi1ELi2ELi0ELi3EEEES1V_NSS_IJLi4ELi1ELi1ELi1EEEES1V_NSS_IJLi1ELi1ELi1ELi1EEEES1T_S1U_S1V_S1V_S1W_S1V_S1X_NSS_IJLi0ELi1ELi2ELi3ELi4ELi5EEEELi5ELi4EEEfNS5_IJPKfEEEfS8_S8_S9_NSB_INS5_IJSE_SG_SI_SG_SG_SK_SG_SM_SM_SO_SO_SQ_SG_SG_NSP_INS5_IJiNS_17integral_constantIiLi128EEEEEELb0EEENSF_INS23_IiLi1EEEEEEEENS5_IJST_SU_SV_SW_SX_SY_SZ_S10_S11_S12_S13_S14_S15_NSS_IJLi15EEEES1C_NSS_IJLi16EEEEEEENS5_IJS17_SX_SY_SZ_S18_S19_S1A_S12_S13_S15_S14_S1B_S1C_NSS_IJLi18EEEENSS_IJLi19ELi20EEEENSS_IJLi21EEEEEEENSS_IJLi18ELi19ELi20ELi21EEEElEENSB_INS5_IJSQ_SO_SO_SQ_SG_SG_S26_S28_EEENS5_IJST_SU_SV_SX_SW_SY_S18_SZ_EEENS5_IJS1I_SW_SX_S1J_S18_NSS_IJLi8EEEENSS_IJLi9ELi10EEEES12_EEENSS_IJLi8ELi9ELi10ELi11EEEElEENS5_IJNSB_INS5_IJSK_SO_SO_NSP_INS5_IJiNS23_IiLi2EEENS23_IiLi64EEEEEELb0EEES2T_EEENS5_IJST_SU_SV_SW_SX_EEENS5_IJS1I_SW_SX_NSS_IJLi5ELi6ELi7EEEENSS_IJLi8ELi9ELi10EEEEEEENSS_IJLi5ELi6ELi7ELi8ELi9ELi10EEEElEEEEES30_NS_31BlockToCTileMap_M00_N00_M01_N01ILi128ELi128ES1R_Lb0EEENS1_30ComputePtrOffsetOfStridedBatchILi1ELi1ELi1EvEELb0ELb0EEEvPKT0_S38_T1_PT2_T3_T4_T5_iT6_T7_T8_T9_T10_T11_,@function
_ZN2ck16tensor_operation6device12_GLOBAL__N_137kernel_grouped_conv_fwd_dl_multiple_dINS_32GridwiseGemmDlMultipleD_km_kn_mnILi256EffNS_5TupleIJfEEEfNS0_12element_wise11PassThroughES8_NS7_7AddReluELNS_25InMemoryDataOperationEnumE0ENS_16TensorDescriptorINS5_IJNS_5EmbedINS5_IJiiiEEESD_Lb0EEENS_11PassThroughIiEENS_3PadIiiiLb0EEESG_SG_NSC_INS5_IJiiEEESJ_Lb0EEESG_NS_23Merge_v2_magic_divisionISJ_EESM_NS_8RightPadIiiLb0EEESO_NS_7UnMergeISJ_Lb0EEESG_EEENS5_IJNS_8SequenceIJLi0EEEENSS_IJLi1EEEENSS_IJLi2EEEENSS_IJLi3EEEENSS_IJLi4EEEENSS_IJLi5EEEENSS_IJLi6EEEENSS_IJLi7ELi9EEEENSS_IJLi8ELi10EEEENSS_IJLi11EEEENSS_IJLi12EEEENSS_IJLi14EEEENSS_IJLi13EEEEEEENS5_IJNSS_IJLi1ELi2ELi3EEEESX_SY_SZ_NSS_IJLi7EEEENSS_IJLi8ELi9EEEENSS_IJLi10EEEES12_S13_S15_S14_NSS_IJLi15ELi16EEEENSS_IJLi17EEEEEEENSS_IJLi15ELi17ELi16EEEElEENSB_INS5_IJSQ_SO_SO_SQ_SG_EEENS5_IJST_SU_SV_SX_SW_EEENS5_IJNSS_IJLi1ELi2EEEESW_SX_NSS_IJLi5ELi6EEEES18_EEENSS_IJLi5ELi7ELi6EEEElEENSB_INS5_IJSK_SO_SO_EEENS5_IJST_SU_SV_EEENS5_IJS1I_SW_SX_EEENSS_IJLi3ELi4EEEElEELi128ELi128ELi16ELi1ELi4ELi4ELi1ENSS_IJLi8ELi2EEEES1S_NSS_IJLi8ELi1ELi1ELi1EEEENSS_IJLi2ELi1ELi128ELi1EEEENSS_IJLi1ELi2ELi0ELi3EEEES1V_NSS_IJLi4ELi1ELi1ELi1EEEES1V_NSS_IJLi1ELi1ELi1ELi1EEEES1T_S1U_S1V_S1V_S1W_S1V_S1X_NSS_IJLi0ELi1ELi2ELi3ELi4ELi5EEEELi5ELi4EEEfNS5_IJPKfEEEfS8_S8_S9_NSB_INS5_IJSE_SG_SI_SG_SG_SK_SG_SM_SM_SO_SO_SQ_SG_SG_NSP_INS5_IJiNS_17integral_constantIiLi128EEEEEELb0EEENSF_INS23_IiLi1EEEEEEEENS5_IJST_SU_SV_SW_SX_SY_SZ_S10_S11_S12_S13_S14_S15_NSS_IJLi15EEEES1C_NSS_IJLi16EEEEEEENS5_IJS17_SX_SY_SZ_S18_S19_S1A_S12_S13_S15_S14_S1B_S1C_NSS_IJLi18EEEENSS_IJLi19ELi20EEEENSS_IJLi21EEEEEEENSS_IJLi18ELi19ELi20ELi21EEEElEENSB_INS5_IJSQ_SO_SO_SQ_SG_SG_S26_S28_EEENS5_IJST_SU_SV_SX_SW_SY_S18_SZ_EEENS5_IJS1I_SW_SX_S1J_S18_NSS_IJLi8EEEENSS_IJLi9ELi10EEEES12_EEENSS_IJLi8ELi9ELi10ELi11EEEElEENS5_IJNSB_INS5_IJSK_SO_SO_NSP_INS5_IJiNS23_IiLi2EEENS23_IiLi64EEEEEELb0EEES2T_EEENS5_IJST_SU_SV_SW_SX_EEENS5_IJS1I_SW_SX_NSS_IJLi5ELi6ELi7EEEENSS_IJLi8ELi9ELi10EEEEEEENSS_IJLi5ELi6ELi7ELi8ELi9ELi10EEEElEEEEES30_NS_31BlockToCTileMap_M00_N00_M01_N01ILi128ELi128ES1R_Lb0EEENS1_30ComputePtrOffsetOfStridedBatchILi1ELi1ELi1EvEELb0ELb0EEEvPKT0_S38_T1_PT2_T3_T4_T5_iT6_T7_T8_T9_T10_T11_: ; @_ZN2ck16tensor_operation6device12_GLOBAL__N_137kernel_grouped_conv_fwd_dl_multiple_dINS_32GridwiseGemmDlMultipleD_km_kn_mnILi256EffNS_5TupleIJfEEEfNS0_12element_wise11PassThroughES8_NS7_7AddReluELNS_25InMemoryDataOperationEnumE0ENS_16TensorDescriptorINS5_IJNS_5EmbedINS5_IJiiiEEESD_Lb0EEENS_11PassThroughIiEENS_3PadIiiiLb0EEESG_SG_NSC_INS5_IJiiEEESJ_Lb0EEESG_NS_23Merge_v2_magic_divisionISJ_EESM_NS_8RightPadIiiLb0EEESO_NS_7UnMergeISJ_Lb0EEESG_EEENS5_IJNS_8SequenceIJLi0EEEENSS_IJLi1EEEENSS_IJLi2EEEENSS_IJLi3EEEENSS_IJLi4EEEENSS_IJLi5EEEENSS_IJLi6EEEENSS_IJLi7ELi9EEEENSS_IJLi8ELi10EEEENSS_IJLi11EEEENSS_IJLi12EEEENSS_IJLi14EEEENSS_IJLi13EEEEEEENS5_IJNSS_IJLi1ELi2ELi3EEEESX_SY_SZ_NSS_IJLi7EEEENSS_IJLi8ELi9EEEENSS_IJLi10EEEES12_S13_S15_S14_NSS_IJLi15ELi16EEEENSS_IJLi17EEEEEEENSS_IJLi15ELi17ELi16EEEElEENSB_INS5_IJSQ_SO_SO_SQ_SG_EEENS5_IJST_SU_SV_SX_SW_EEENS5_IJNSS_IJLi1ELi2EEEESW_SX_NSS_IJLi5ELi6EEEES18_EEENSS_IJLi5ELi7ELi6EEEElEENSB_INS5_IJSK_SO_SO_EEENS5_IJST_SU_SV_EEENS5_IJS1I_SW_SX_EEENSS_IJLi3ELi4EEEElEELi128ELi128ELi16ELi1ELi4ELi4ELi1ENSS_IJLi8ELi2EEEES1S_NSS_IJLi8ELi1ELi1ELi1EEEENSS_IJLi2ELi1ELi128ELi1EEEENSS_IJLi1ELi2ELi0ELi3EEEES1V_NSS_IJLi4ELi1ELi1ELi1EEEES1V_NSS_IJLi1ELi1ELi1ELi1EEEES1T_S1U_S1V_S1V_S1W_S1V_S1X_NSS_IJLi0ELi1ELi2ELi3ELi4ELi5EEEELi5ELi4EEEfNS5_IJPKfEEEfS8_S8_S9_NSB_INS5_IJSE_SG_SI_SG_SG_SK_SG_SM_SM_SO_SO_SQ_SG_SG_NSP_INS5_IJiNS_17integral_constantIiLi128EEEEEELb0EEENSF_INS23_IiLi1EEEEEEEENS5_IJST_SU_SV_SW_SX_SY_SZ_S10_S11_S12_S13_S14_S15_NSS_IJLi15EEEES1C_NSS_IJLi16EEEEEEENS5_IJS17_SX_SY_SZ_S18_S19_S1A_S12_S13_S15_S14_S1B_S1C_NSS_IJLi18EEEENSS_IJLi19ELi20EEEENSS_IJLi21EEEEEEENSS_IJLi18ELi19ELi20ELi21EEEElEENSB_INS5_IJSQ_SO_SO_SQ_SG_SG_S26_S28_EEENS5_IJST_SU_SV_SX_SW_SY_S18_SZ_EEENS5_IJS1I_SW_SX_S1J_S18_NSS_IJLi8EEEENSS_IJLi9ELi10EEEES12_EEENSS_IJLi8ELi9ELi10ELi11EEEElEENS5_IJNSB_INS5_IJSK_SO_SO_NSP_INS5_IJiNS23_IiLi2EEENS23_IiLi64EEEEEELb0EEES2T_EEENS5_IJST_SU_SV_SW_SX_EEENS5_IJS1I_SW_SX_NSS_IJLi5ELi6ELi7EEEENSS_IJLi8ELi9ELi10EEEEEEENSS_IJLi5ELi6ELi7ELi8ELi9ELi10EEEElEEEEES30_NS_31BlockToCTileMap_M00_N00_M01_N01ILi128ELi128ES1R_Lb0EEENS1_30ComputePtrOffsetOfStridedBatchILi1ELi1ELi1EvEELb0ELb0EEEvPKT0_S38_T1_PT2_T3_T4_T5_iT6_T7_T8_T9_T10_T11_
; %bb.0:
	s_clause 0x3
	s_load_b32 s2, s[0:1], 0x24
	s_load_b128 s[40:43], s[0:1], 0x234
	s_load_b32 s4, s[0:1], 0x288
	s_load_b128 s[36:39], s[0:1], 0x248
	v_lshrrev_b32_e32 v37, 1, v0
	v_mov_b32_e32 v43, 0
	v_lshrrev_b32_e32 v64, 5, v0
	v_mov_b32_e32 v17, 0
	v_mov_b32_e32 v11, 0
	;; [unrolled: 1-line block ×3, first 2 shown]
	v_dual_mov_b32 v35, 0 :: v_dual_mov_b32 v54, 0
	v_dual_mov_b32 v31, 0 :: v_dual_mov_b32 v52, 0
	;; [unrolled: 1-line block ×5, first 2 shown]
	s_waitcnt lgkmcnt(0)
	s_abs_i32 s3, s2
	v_dual_mov_b32 v9, 0 :: v_dual_mov_b32 v20, 0
	v_cvt_f32_u32_e32 v1, s3
	s_sub_i32 s6, 0, s3
	s_abs_i32 s7, s4
	s_xor_b32 s2, s4, s2
	v_dual_mov_b32 v55, 0 :: v_dual_mov_b32 v24, 0
	v_rcp_iflag_f32_e32 v1, v1
	s_ashr_i32 s2, s2, 31
	v_dual_mov_b32 v51, 0 :: v_dual_mov_b32 v26, 0
	v_dual_mov_b32 v47, 0 :: v_dual_mov_b32 v22, 0
	v_dual_mov_b32 v45, 0 :: v_dual_mov_b32 v14, 0
	v_dual_mov_b32 v33, 0 :: v_dual_mov_b32 v12, 0
	s_waitcnt_depctr 0xfff
	v_mul_f32_e32 v1, 0x4f7ffffe, v1
	v_dual_mov_b32 v13, 0 :: v_dual_mov_b32 v44, 0
	v_mov_b32_e32 v42, 0
	v_mov_b32_e32 v40, 0
	s_delay_alu instid0(VALU_DEP_4)
	v_cvt_u32_f32_e32 v1, v1
	v_mov_b32_e32 v30, 0
	v_mov_b32_e32 v46, 0
	;; [unrolled: 1-line block ×4, first 2 shown]
	v_readfirstlane_b32 s5, v1
	v_mov_b32_e32 v10, 0
	s_delay_alu instid0(VALU_DEP_2) | instskip(NEXT) | instid1(SALU_CYCLE_1)
	s_mul_i32 s6, s6, s5
	s_mul_hi_u32 s6, s5, s6
	s_delay_alu instid0(SALU_CYCLE_1) | instskip(NEXT) | instid1(SALU_CYCLE_1)
	s_add_i32 s5, s5, s6
	s_mul_hi_u32 s5, s7, s5
	s_delay_alu instid0(SALU_CYCLE_1) | instskip(SKIP_2) | instid1(SALU_CYCLE_1)
	s_mul_i32 s4, s5, s3
	s_add_i32 s6, s5, 1
	s_sub_i32 s4, s7, s4
	s_sub_i32 s7, s4, s3
	s_cmp_ge_u32 s4, s3
	s_cselect_b32 s5, s6, s5
	s_cselect_b32 s4, s7, s4
	s_add_i32 s6, s5, 1
	s_cmp_ge_u32 s4, s3
	s_cselect_b32 s3, s6, s5
	s_abs_i32 s12, s15
	s_xor_b32 s3, s3, s2
	s_delay_alu instid0(SALU_CYCLE_1) | instskip(NEXT) | instid1(SALU_CYCLE_1)
	s_sub_i32 s2, s3, s2
	s_abs_i32 s3, s2
	s_xor_b32 s2, s15, s2
	v_cvt_f32_u32_e32 v1, s3
	s_sub_i32 s5, 0, s3
	s_ashr_i32 s2, s2, 31
	s_delay_alu instid0(VALU_DEP_1) | instskip(SKIP_2) | instid1(VALU_DEP_1)
	v_rcp_iflag_f32_e32 v1, v1
	s_waitcnt_depctr 0xfff
	v_mul_f32_e32 v1, 0x4f7ffffe, v1
	v_cvt_u32_f32_e32 v1, v1
	s_delay_alu instid0(VALU_DEP_1) | instskip(SKIP_1) | instid1(VALU_DEP_2)
	v_readfirstlane_b32 s4, v1
	v_lshlrev_b32_e32 v1, 3, v0
	s_mul_i32 s5, s5, s4
	s_delay_alu instid0(VALU_DEP_1) | instskip(SKIP_1) | instid1(SALU_CYCLE_1)
	v_and_b32_e32 v34, 8, v1
	s_mul_hi_u32 s5, s4, s5
	s_add_i32 s13, s4, s5
	s_load_b256 s[4:11], s[0:1], 0x260
	s_mul_hi_u32 s13, s12, s13
	s_delay_alu instid0(SALU_CYCLE_1) | instskip(NEXT) | instid1(SALU_CYCLE_1)
	s_mul_i32 s14, s13, s3
	s_sub_i32 s12, s12, s14
	s_add_i32 s14, s13, 1
	s_sub_i32 s16, s12, s3
	s_cmp_ge_u32 s12, s3
	s_cselect_b32 s13, s14, s13
	s_cselect_b32 s12, s16, s12
	s_load_b256 s[16:23], s[0:1], 0x0
	s_add_i32 s14, s13, 1
	s_cmp_ge_u32 s12, s3
	s_cselect_b32 s3, s14, s13
	s_delay_alu instid0(SALU_CYCLE_1) | instskip(NEXT) | instid1(SALU_CYCLE_1)
	s_xor_b32 s3, s3, s2
	s_sub_i32 s14, s3, s2
	s_delay_alu instid0(SALU_CYCLE_1)
	s_ashr_i32 s3, s14, 31
	s_waitcnt lgkmcnt(0)
	s_mul_hi_u32 s13, s4, s14
	s_mul_i32 s2, s4, s14
	s_mul_hi_u32 s26, s8, s14
	s_mul_i32 s4, s4, s3
	s_mul_i32 s27, s6, s3
	;; [unrolled: 1-line block ×4, first 2 shown]
	s_mul_hi_u32 s24, s6, s14
	s_mul_i32 s9, s9, s14
	s_add_i32 s4, s13, s4
	s_add_i32 s13, s26, s3
	s_mul_hi_u32 s25, s10, s14
	s_mul_i32 s5, s5, s14
	s_mul_i32 s7, s7, s14
	;; [unrolled: 1-line block ×3, first 2 shown]
	s_add_i32 s8, s24, s27
	s_add_i32 s13, s13, s9
	s_mul_i32 s11, s11, s14
	s_add_i32 s24, s25, s28
	s_add_i32 s3, s4, s5
	;; [unrolled: 1-line block ×3, first 2 shown]
	s_lshl_b64 s[8:9], s[12:13], 2
	s_add_i32 s7, s24, s11
	s_add_u32 s20, s20, s8
	s_addc_u32 s21, s21, s9
	s_lshl_b64 s[2:3], s[2:3], 2
	s_mul_i32 s4, s6, s14
	s_add_u32 s16, s16, s2
	s_addc_u32 s17, s17, s3
	s_lshl_b64 s[2:3], s[4:5], 2
	s_mul_i32 s6, s10, s14
	s_add_u32 s24, s18, s2
	s_addc_u32 s25, s19, s3
	s_lshl_b64 s[2:3], s[6:7], 2
	s_mul_hi_u32 s4, s43, s15
	s_add_u32 s12, s22, s2
	s_addc_u32 s13, s23, s3
	s_add_i32 s2, s15, s4
	s_load_b128 s[28:31], s[0:1], 0x220
	s_lshr_b32 s18, s2, s39
	s_load_b32 s39, s[0:1], 0x214
	s_mul_hi_u32 s2, s18, s42
	s_load_b32 s3, s[0:1], 0xc4
	s_add_i32 s2, s18, s2
	s_clause 0x3
	s_load_b32 s4, s[0:1], 0x78
	s_load_b32 s19, s[0:1], 0x80
	;; [unrolled: 1-line block ×4, first 2 shown]
	s_lshr_b32 s27, s2, s38
	s_load_b32 s2, s[0:1], 0x204
	s_mul_hi_u32 s6, s27, s41
	s_clause 0x5
	s_load_b32 s33, s[0:1], 0xe8
	s_load_b32 s34, s[0:1], 0xf8
	;; [unrolled: 1-line block ×6, first 2 shown]
	s_add_i32 s6, s27, s6
	s_delay_alu instid0(SALU_CYCLE_1) | instskip(NEXT) | instid1(SALU_CYCLE_1)
	s_lshr_b32 s37, s6, s37
	s_mul_hi_u32 s6, s37, s40
	s_delay_alu instid0(SALU_CYCLE_1) | instskip(NEXT) | instid1(SALU_CYCLE_1)
	s_add_i32 s6, s37, s6
	s_lshr_b32 s6, s6, s36
	s_waitcnt lgkmcnt(0)
	s_mul_i32 s7, s27, s30
	s_mul_i32 s6, s6, s28
	s_clause 0x1
	s_load_b32 s30, s[0:1], 0x9c
	s_load_b32 s28, s[0:1], 0xa8
	v_mul_lo_u32 v39, s3, v34
	s_sub_i32 s6, s37, s6
	s_sub_i32 s7, s18, s7
	s_load_b32 s36, s[0:1], 0x70
	s_mul_i32 s6, s6, s2
	s_mul_i32 s37, s37, s29
	s_add_i32 s7, s7, s6
	s_mul_i32 s18, s18, s31
	s_lshl_b32 s14, s7, 7
	v_lshl_add_u32 v48, s3, 2, v39
	v_or_b32_e32 v49, s14, v37
	s_load_b64 s[2:3], s[0:1], 0x60
	v_mul_hi_u32 v1, v39, s5
	v_mul_lo_u32 v27, s35, v34
	v_mul_hi_u32 v2, v48, s5
	v_mul_hi_u32 v3, v49, s4
	s_load_b256 s[4:11], s[0:1], 0x34
	s_waitcnt lgkmcnt(0)
	s_sub_i32 s7, s27, s37
	s_sub_i32 s11, s15, s18
	s_lshl_b32 s18, s33, 2
	v_add_nc_u32_e32 v1, v39, v1
	v_add_nc_u32_e32 v2, v48, v2
	;; [unrolled: 1-line block ×3, first 2 shown]
	s_delay_alu instid0(VALU_DEP_3) | instskip(NEXT) | instid1(VALU_DEP_3)
	v_lshrrev_b32_e32 v4, s30, v1
	v_lshrrev_b32_e32 v5, s30, v2
	s_delay_alu instid0(VALU_DEP_3) | instskip(SKIP_1) | instid1(VALU_DEP_3)
	v_lshrrev_b32_e32 v6, s19, v3
	s_mov_b32 s19, 0x31004000
	v_mul_lo_u32 v2, v4, s26
	v_mul_lo_u32 v1, v4, s2
	v_sub_nc_u32_e32 v3, v5, v4
	v_mul_lo_u32 v4, v6, s36
	s_mov_b32 s27, s19
	s_mov_b32 s15, s19
	v_mul_lo_u32 v6, v6, s4
	v_mul_lo_u32 v50, v3, s2
	v_sub_nc_u32_e32 v2, v39, v2
	s_lshl_b32 s4, s35, 2
	s_sub_i32 s8, s8, s10
	v_sub_nc_u32_e32 v4, v49, v4
	v_cmp_gt_i32_e64 s2, s23, v27
	s_delay_alu instid0(VALU_DEP_2)
	v_mad_u64_u32 v[28:29], null, v4, s3, v[1:2]
	s_load_b32 s3, s[0:1], 0xb4
	s_mul_i32 s7, s7, s39
	v_mad_u64_u32 v[3:4], null, v5, s26, v[2:3]
	s_add_i32 s11, s11, s7
	v_mul_lo_u32 v1, v50, s5
	s_lshl_b32 s11, s11, 7
	s_lshl_b32 s26, s38, 2
	v_or_b32_e32 v53, s11, v37
	v_lshlrev_b32_e32 v37, 2, v37
	s_delay_alu instid0(VALU_DEP_4) | instskip(SKIP_1) | instid1(VALU_DEP_4)
	v_sub_nc_u32_e32 v7, v48, v3
	v_mov_b32_e32 v29, 0
	v_mad_u64_u32 v[4:5], null, v53, s34, v[27:28]
	v_mul_lo_u32 v5, v2, s6
	v_subrev_nc_u32_e32 v2, s9, v28
	s_waitcnt lgkmcnt(0)
	v_cmp_gt_i32_e32 vcc_lo, s3, v39
	s_delay_alu instid0(VALU_DEP_2)
	v_mul_lo_u32 v8, v2, s5
	v_lshlrev_b32_e32 v3, 2, v4
	v_add_lshl_u32 v4, v4, s4, 2
	v_cmp_gt_i32_e64 s5, s8, v28
	v_cmp_gt_i32_e64 s3, s3, v48
	s_clause 0x1
	buffer_load_b128 v[56:59], v3, s[24:27], 0 offen
	buffer_load_b128 v[60:63], v4, s[24:27], 0 offen
	v_mad_u64_u32 v[2:3], null, v7, s6, v[1:2]
	v_add3_u32 v1, v6, v5, v8
	v_lshlrev_b32_e32 v6, 6, v64
	v_add_nc_u32_e32 v27, s4, v27
	v_cmp_le_i32_e64 s4, s9, v28
	s_delay_alu instid0(VALU_DEP_4)
	v_dual_mov_b32 v8, 0 :: v_dual_lshlrev_b32 v3, 2, v1
	v_add_lshl_u32 v1, v2, v1, 2
	s_clause 0x1
	buffer_load_b128 v[68:71], v3, s[16:19], 0 offen
	buffer_load_b128 v[72:75], v1, s[16:19], 0 offen
	v_dual_mov_b32 v25, 0 :: v_dual_lshlrev_b32 v2, 1, v0
	v_mov_b32_e32 v15, 0
	v_dual_mov_b32 v1, 0 :: v_dual_lshlrev_b32 v0, 2, v0
	s_delay_alu instid0(VALU_DEP_3)
	v_and_b32_e32 v4, 0x1f8, v2
	v_and_b32_e32 v2, 0x1fc, v2
	v_cmp_gt_i32_e64 s6, s23, v27
	s_and_b32 s5, s4, s5
	v_cmp_gt_i32_e64 s4, s28, v49
	v_sub_nc_u32_e32 v66, v4, v6
	v_sub_nc_u32_e32 v2, v2, v4
	s_and_b32 s5, vcc_lo, s5
	v_mov_b32_e32 v7, 0
	v_dual_mov_b32 v5, 0 :: v_dual_mov_b32 v4, 0
	s_delay_alu instid0(VALU_DEP_3)
	v_lshl_add_u32 v65, v64, 3, v2
	v_mov_b32_e32 v2, 0
	v_lshl_or_b32 v34, v34, 9, v37
	v_add_nc_u32_e32 v37, v28, v50
	v_and_or_b32 v64, v0, 4, v66
	v_dual_mov_b32 v3, 0 :: v_dual_mov_b32 v0, 0
	v_mov_b32_e32 v6, 0
	s_delay_alu instid0(VALU_DEP_4) | instskip(SKIP_3) | instid1(VALU_DEP_2)
	v_cmp_le_i32_e64 s7, s9, v37
	v_cmp_gt_i32_e64 s9, s22, v53
	v_cmp_gt_i32_e64 s8, s8, v37
	s_mov_b32 s23, s19
	s_and_b32 vcc_lo, s2, s9
	v_lshlrev_b32_e32 v66, 2, v65
	v_lshlrev_b32_e32 v67, 2, v64
	s_and_b32 s7, s7, s8
	v_add_nc_u32_e32 v64, s11, v64
	s_and_b32 s2, s3, s7
	s_waitcnt vmcnt(3)
	v_dual_cndmask_b32 v28, 0, v58 :: v_dual_cndmask_b32 v27, 0, v59
	v_cndmask_b32_e32 v37, 0, v57, vcc_lo
	v_cndmask_b32_e32 v39, 0, v56, vcc_lo
	s_and_b32 vcc_lo, s6, s9
	s_waitcnt vmcnt(2)
	v_dual_mov_b32 v58, 0 :: v_dual_cndmask_b32 v49, 0, v61
	v_cndmask_b32_e32 v50, 0, v60, vcc_lo
	v_dual_cndmask_b32 v48, 0, v63 :: v_dual_cndmask_b32 v53, 0, v62
	s_and_b32 vcc_lo, s4, s5
	ds_store_2addr_stride64_b32 v34, v39, v37 offset0:64 offset1:66
	ds_store_2addr_stride64_b32 v34, v28, v27 offset0:68 offset1:70
	ds_store_2addr_stride64_b32 v34, v50, v49 offset0:72 offset1:74
	s_waitcnt vmcnt(1)
	v_dual_mov_b32 v62, 0 :: v_dual_cndmask_b32 v27, 0, v71
	v_dual_cndmask_b32 v28, 0, v70 :: v_dual_cndmask_b32 v37, 0, v69
	v_dual_mov_b32 v60, 0 :: v_dual_cndmask_b32 v39, 0, v68
	s_and_b32 vcc_lo, s4, s2
	s_waitcnt vmcnt(0)
	v_dual_mov_b32 v63, 0 :: v_dual_cndmask_b32 v50, 0, v73
	v_dual_cndmask_b32 v56, 0, v72 :: v_dual_cndmask_b32 v49, 0, v75
	v_cndmask_b32_e32 v57, 0, v74, vcc_lo
	ds_store_2addr_stride64_b32 v34, v53, v48 offset0:76 offset1:78
	ds_store_2addr_stride64_b32 v34, v39, v37 offset1:2
	ds_store_2addr_stride64_b32 v34, v28, v27 offset0:4 offset1:6
	ds_store_2addr_stride64_b32 v34, v56, v50 offset0:8 offset1:10
	;; [unrolled: 1-line block ×3, first 2 shown]
	v_mov_b32_e32 v50, 0
	s_waitcnt lgkmcnt(0)
	s_barrier
	buffer_gl0_inv
	ds_load_b128 v[68:71], v66
	ds_load_b128 v[72:75], v67 offset:16384
	v_dual_mov_b32 v27, 0 :: v_dual_mov_b32 v48, 0
	v_dual_mov_b32 v28, 0 :: v_dual_mov_b32 v61, 0
	;; [unrolled: 1-line block ×3, first 2 shown]
	v_mov_b32_e32 v57, 0
	v_mov_b32_e32 v53, 0
	v_dual_mov_b32 v49, 0 :: v_dual_mov_b32 v34, 0
	ds_load_b128 v[76:79], v67 offset:16640
	ds_load_b128 v[80:83], v66 offset:256
	v_mov_b32_e32 v37, 0
	v_mov_b32_e32 v39, 0
	s_waitcnt lgkmcnt(2)
	;;#ASMSTART
	
             v_fmac_f32 v44, v68, v72 
             
	;;#ASMEND
	;;#ASMSTART
	
             v_fmac_f32 v41, v68, v73 
             
	;;#ASMEND
	;; [unrolled: 5-line block ×16, first 2 shown]
	s_waitcnt lgkmcnt(1)
	;;#ASMSTART
	
             v_fmac_f32 v55, v68, v76 
             
	;;#ASMEND
	;;#ASMSTART
	
             v_fmac_f32 v54, v68, v77 
             
	;;#ASMEND
	;;#ASMSTART
	
             v_fmac_f32 v51, v68, v78 
             
	;;#ASMEND
	;;#ASMSTART
	
             v_fmac_f32 v52, v68, v79 
             
	;;#ASMEND
	;;#ASMSTART
	
             v_fmac_f32 v46, v69, v76 
             
	;;#ASMEND
	;;#ASMSTART
	
             v_fmac_f32 v47, v69, v77 
             
	;;#ASMEND
	;;#ASMSTART
	
             v_fmac_f32 v43, v69, v78 
             
	;;#ASMEND
	;;#ASMSTART
	
             v_fmac_f32 v45, v69, v79 
             
	;;#ASMEND
	;;#ASMSTART
	
             v_fmac_f32 v36, v70, v76 
             
	;;#ASMEND
	;;#ASMSTART
	
             v_fmac_f32 v38, v70, v77 
             
	;;#ASMEND
	;;#ASMSTART
	
             v_fmac_f32 v32, v70, v78 
             
	;;#ASMEND
	;;#ASMSTART
	
             v_fmac_f32 v33, v70, v79 
             
	;;#ASMEND
	;;#ASMSTART
	
             v_fmac_f32 v25, v71, v76 
             
	;;#ASMEND
	;;#ASMSTART
	
             v_fmac_f32 v20, v71, v77 
             
	;;#ASMEND
	;;#ASMSTART
	
             v_fmac_f32 v15, v71, v78 
             
	;;#ASMEND
	;;#ASMSTART
	
             v_fmac_f32 v16, v71, v79 
             
	;;#ASMEND
	ds_load_b128 v[68:71], v66 offset:512
	s_waitcnt lgkmcnt(1)
	;;#ASMSTART
	
             v_fmac_f32 v24, v80, v72 
             
	;;#ASMEND
	;;#ASMSTART
	
             v_fmac_f32 v26, v80, v73 
             
	;;#ASMEND
	;; [unrolled: 5-line block ×16, first 2 shown]
	ds_load_b128 v[72:75], v67 offset:16896
	;;#ASMSTART
	
             v_fmac_f32 v62, v80, v76 
             
	;;#ASMEND
	;;#ASMSTART
	
             v_fmac_f32 v63, v80, v77 
             
	;;#ASMEND
	;; [unrolled: 5-line block ×16, first 2 shown]
	ds_load_b128 v[76:79], v67 offset:17152
	ds_load_b128 v[80:83], v66 offset:768
	s_waitcnt lgkmcnt(2)
	;;#ASMSTART
	
             v_fmac_f32 v44, v68, v72 
             
	;;#ASMEND
	;;#ASMSTART
	
             v_fmac_f32 v41, v68, v73 
             
	;;#ASMEND
	;; [unrolled: 5-line block ×16, first 2 shown]
	s_waitcnt lgkmcnt(1)
	;;#ASMSTART
	
             v_fmac_f32 v55, v68, v76 
             
	;;#ASMEND
	;;#ASMSTART
	
             v_fmac_f32 v54, v68, v77 
             
	;;#ASMEND
	;; [unrolled: 5-line block ×16, first 2 shown]
	ds_load_b128 v[68:71], v66 offset:1024
	s_waitcnt lgkmcnt(1)
	;;#ASMSTART
	
             v_fmac_f32 v24, v80, v72 
             
	;;#ASMEND
	;;#ASMSTART
	
             v_fmac_f32 v26, v80, v73 
             
	;;#ASMEND
	;; [unrolled: 5-line block ×16, first 2 shown]
	ds_load_b128 v[72:75], v67 offset:17408
	;;#ASMSTART
	
             v_fmac_f32 v62, v80, v76 
             
	;;#ASMEND
	;;#ASMSTART
	
             v_fmac_f32 v63, v80, v77 
             
	;;#ASMEND
	;;#ASMSTART
	
             v_fmac_f32 v60, v80, v78 
             
	;;#ASMEND
	;;#ASMSTART
	
             v_fmac_f32 v61, v80, v79 
             
	;;#ASMEND
	;;#ASMSTART
	
             v_fmac_f32 v58, v81, v76 
             
	;;#ASMEND
	;;#ASMSTART
	
             v_fmac_f32 v59, v81, v77 
             
	;;#ASMEND
	;;#ASMSTART
	
             v_fmac_f32 v56, v81, v78 
             
	;;#ASMEND
	;;#ASMSTART
	
             v_fmac_f32 v57, v81, v79 
             
	;;#ASMEND
	;;#ASMSTART
	
             v_fmac_f32 v53, v82, v76 
             
	;;#ASMEND
	;;#ASMSTART
	
             v_fmac_f32 v50, v82, v77 
             
	;;#ASMEND
	;;#ASMSTART
	
             v_fmac_f32 v48, v82, v78 
             
	;;#ASMEND
	;;#ASMSTART
	
             v_fmac_f32 v49, v82, v79 
             
	;;#ASMEND
	;;#ASMSTART
	
             v_fmac_f32 v34, v83, v76 
             
	;;#ASMEND
	;;#ASMSTART
	
             v_fmac_f32 v37, v83, v77 
             
	;;#ASMEND
	;;#ASMSTART
	
             v_fmac_f32 v39, v83, v78 
             
	;;#ASMEND
	;;#ASMSTART
	
             v_fmac_f32 v1, v83, v79 
             
	;;#ASMEND
	ds_load_b128 v[76:79], v67 offset:17664
	ds_load_b128 v[80:83], v66 offset:1280
	s_waitcnt lgkmcnt(2)
	;;#ASMSTART
	
             v_fmac_f32 v44, v68, v72 
             
	;;#ASMEND
	;;#ASMSTART
	
             v_fmac_f32 v41, v68, v73 
             
	;;#ASMEND
	;; [unrolled: 5-line block ×16, first 2 shown]
	s_waitcnt lgkmcnt(1)
	;;#ASMSTART
	
             v_fmac_f32 v55, v68, v76 
             
	;;#ASMEND
	;;#ASMSTART
	
             v_fmac_f32 v54, v68, v77 
             
	;;#ASMEND
	;; [unrolled: 5-line block ×16, first 2 shown]
	ds_load_b128 v[68:71], v66 offset:1536
	s_waitcnt lgkmcnt(1)
	;;#ASMSTART
	
             v_fmac_f32 v24, v80, v72 
             
	;;#ASMEND
	;;#ASMSTART
	
             v_fmac_f32 v26, v80, v73 
             
	;;#ASMEND
	;; [unrolled: 5-line block ×16, first 2 shown]
	ds_load_b128 v[72:75], v67 offset:17920
	;;#ASMSTART
	
             v_fmac_f32 v62, v80, v76 
             
	;;#ASMEND
	;;#ASMSTART
	
             v_fmac_f32 v63, v80, v77 
             
	;;#ASMEND
	;; [unrolled: 5-line block ×16, first 2 shown]
	ds_load_b128 v[76:79], v67 offset:18176
	ds_load_b128 v[80:83], v66 offset:1792
	s_waitcnt lgkmcnt(2)
	;;#ASMSTART
	
             v_fmac_f32 v44, v68, v72 
             
	;;#ASMEND
	;;#ASMSTART
	
             v_fmac_f32 v41, v68, v73 
             
	;;#ASMEND
	;; [unrolled: 5-line block ×16, first 2 shown]
	s_waitcnt lgkmcnt(1)
	;;#ASMSTART
	
             v_fmac_f32 v55, v68, v76 
             
	;;#ASMEND
	;;#ASMSTART
	
             v_fmac_f32 v54, v68, v77 
             
	;;#ASMEND
	;; [unrolled: 5-line block ×16, first 2 shown]
	ds_load_b128 v[68:71], v66 offset:2048
	s_waitcnt lgkmcnt(1)
	;;#ASMSTART
	
             v_fmac_f32 v24, v80, v72 
             
	;;#ASMEND
	;;#ASMSTART
	
             v_fmac_f32 v26, v80, v73 
             
	;;#ASMEND
	;; [unrolled: 5-line block ×16, first 2 shown]
	ds_load_b128 v[72:75], v67 offset:18432
	;;#ASMSTART
	
             v_fmac_f32 v62, v80, v76 
             
	;;#ASMEND
	;;#ASMSTART
	
             v_fmac_f32 v63, v80, v77 
             
	;;#ASMEND
	;;#ASMSTART
	
             v_fmac_f32 v60, v80, v78 
             
	;;#ASMEND
	;;#ASMSTART
	
             v_fmac_f32 v61, v80, v79 
             
	;;#ASMEND
	;;#ASMSTART
	
             v_fmac_f32 v58, v81, v76 
             
	;;#ASMEND
	;;#ASMSTART
	
             v_fmac_f32 v59, v81, v77 
             
	;;#ASMEND
	;;#ASMSTART
	
             v_fmac_f32 v56, v81, v78 
             
	;;#ASMEND
	;;#ASMSTART
	
             v_fmac_f32 v57, v81, v79 
             
	;;#ASMEND
	;;#ASMSTART
	
             v_fmac_f32 v53, v82, v76 
             
	;;#ASMEND
	;;#ASMSTART
	
             v_fmac_f32 v50, v82, v77 
             
	;;#ASMEND
	;;#ASMSTART
	
             v_fmac_f32 v48, v82, v78 
             
	;;#ASMEND
	;;#ASMSTART
	
             v_fmac_f32 v49, v82, v79 
             
	;;#ASMEND
	;;#ASMSTART
	
             v_fmac_f32 v34, v83, v76 
             
	;;#ASMEND
	;;#ASMSTART
	
             v_fmac_f32 v37, v83, v77 
             
	;;#ASMEND
	;;#ASMSTART
	
             v_fmac_f32 v39, v83, v78 
             
	;;#ASMEND
	;;#ASMSTART
	
             v_fmac_f32 v1, v83, v79 
             
	;;#ASMEND
	ds_load_b128 v[76:79], v67 offset:18688
	ds_load_b128 v[80:83], v66 offset:2304
	s_waitcnt lgkmcnt(2)
	;;#ASMSTART
	
             v_fmac_f32 v44, v68, v72 
             
	;;#ASMEND
	;;#ASMSTART
	
             v_fmac_f32 v41, v68, v73 
             
	;;#ASMEND
	;; [unrolled: 5-line block ×16, first 2 shown]
	s_waitcnt lgkmcnt(1)
	;;#ASMSTART
	
             v_fmac_f32 v55, v68, v76 
             
	;;#ASMEND
	;;#ASMSTART
	
             v_fmac_f32 v54, v68, v77 
             
	;;#ASMEND
	;; [unrolled: 5-line block ×16, first 2 shown]
	ds_load_b128 v[68:71], v66 offset:2560
	s_waitcnt lgkmcnt(1)
	;;#ASMSTART
	
             v_fmac_f32 v24, v80, v72 
             
	;;#ASMEND
	;;#ASMSTART
	
             v_fmac_f32 v26, v80, v73 
             
	;;#ASMEND
	;; [unrolled: 5-line block ×16, first 2 shown]
	ds_load_b128 v[72:75], v67 offset:18944
	;;#ASMSTART
	
             v_fmac_f32 v62, v80, v76 
             
	;;#ASMEND
	;;#ASMSTART
	
             v_fmac_f32 v63, v80, v77 
             
	;;#ASMEND
	;; [unrolled: 5-line block ×16, first 2 shown]
	ds_load_b128 v[76:79], v67 offset:19200
	ds_load_b128 v[80:83], v66 offset:2816
	s_waitcnt lgkmcnt(2)
	;;#ASMSTART
	
             v_fmac_f32 v44, v68, v72 
             
	;;#ASMEND
	;;#ASMSTART
	
             v_fmac_f32 v41, v68, v73 
             
	;;#ASMEND
	;; [unrolled: 5-line block ×16, first 2 shown]
	s_waitcnt lgkmcnt(1)
	;;#ASMSTART
	
             v_fmac_f32 v55, v68, v76 
             
	;;#ASMEND
	;;#ASMSTART
	
             v_fmac_f32 v54, v68, v77 
             
	;;#ASMEND
	;; [unrolled: 5-line block ×16, first 2 shown]
	ds_load_b128 v[68:71], v66 offset:3072
	s_waitcnt lgkmcnt(1)
	;;#ASMSTART
	
             v_fmac_f32 v24, v80, v72 
             
	;;#ASMEND
	;;#ASMSTART
	
             v_fmac_f32 v26, v80, v73 
             
	;;#ASMEND
	;; [unrolled: 5-line block ×16, first 2 shown]
	ds_load_b128 v[72:75], v67 offset:19456
	;;#ASMSTART
	
             v_fmac_f32 v62, v80, v76 
             
	;;#ASMEND
	;;#ASMSTART
	
             v_fmac_f32 v63, v80, v77 
             
	;;#ASMEND
	;; [unrolled: 5-line block ×16, first 2 shown]
	ds_load_b128 v[76:79], v67 offset:19712
	ds_load_b128 v[80:83], v66 offset:3328
	s_waitcnt lgkmcnt(2)
	;;#ASMSTART
	
             v_fmac_f32 v44, v68, v72 
             
	;;#ASMEND
	;;#ASMSTART
	
             v_fmac_f32 v41, v68, v73 
             
	;;#ASMEND
	;; [unrolled: 5-line block ×16, first 2 shown]
	s_waitcnt lgkmcnt(1)
	;;#ASMSTART
	
             v_fmac_f32 v55, v68, v76 
             
	;;#ASMEND
	;;#ASMSTART
	
             v_fmac_f32 v54, v68, v77 
             
	;;#ASMEND
	;; [unrolled: 5-line block ×16, first 2 shown]
	ds_load_b128 v[68:71], v66 offset:3584
	s_waitcnt lgkmcnt(1)
	;;#ASMSTART
	
             v_fmac_f32 v24, v80, v72 
             
	;;#ASMEND
	;;#ASMSTART
	
             v_fmac_f32 v26, v80, v73 
             
	;;#ASMEND
	;; [unrolled: 5-line block ×16, first 2 shown]
	ds_load_b128 v[72:75], v67 offset:19968
	;;#ASMSTART
	
             v_fmac_f32 v62, v80, v76 
             
	;;#ASMEND
	;;#ASMSTART
	
             v_fmac_f32 v63, v80, v77 
             
	;;#ASMEND
	;; [unrolled: 5-line block ×16, first 2 shown]
	ds_load_b128 v[76:79], v67 offset:20224
	ds_load_b128 v[80:83], v66 offset:3840
	s_waitcnt lgkmcnt(2)
	;;#ASMSTART
	
             v_fmac_f32 v44, v68, v72 
             
	;;#ASMEND
	;;#ASMSTART
	
             v_fmac_f32 v41, v68, v73 
             
	;;#ASMEND
	;; [unrolled: 5-line block ×16, first 2 shown]
	s_waitcnt lgkmcnt(1)
	;;#ASMSTART
	
             v_fmac_f32 v55, v68, v76 
             
	;;#ASMEND
	;;#ASMSTART
	
             v_fmac_f32 v54, v68, v77 
             
	;;#ASMEND
	;; [unrolled: 5-line block ×16, first 2 shown]
	ds_load_b128 v[68:71], v66 offset:4096
	s_waitcnt lgkmcnt(1)
	;;#ASMSTART
	
             v_fmac_f32 v24, v80, v72 
             
	;;#ASMEND
	;;#ASMSTART
	
             v_fmac_f32 v26, v80, v73 
             
	;;#ASMEND
	;; [unrolled: 5-line block ×16, first 2 shown]
	ds_load_b128 v[72:75], v67 offset:20480
	;;#ASMSTART
	
             v_fmac_f32 v62, v80, v76 
             
	;;#ASMEND
	;;#ASMSTART
	
             v_fmac_f32 v63, v80, v77 
             
	;;#ASMEND
	;; [unrolled: 5-line block ×16, first 2 shown]
	ds_load_b128 v[76:79], v67 offset:20736
	ds_load_b128 v[80:83], v66 offset:4352
	s_waitcnt lgkmcnt(2)
	;;#ASMSTART
	
             v_fmac_f32 v44, v68, v72 
             
	;;#ASMEND
	;;#ASMSTART
	
             v_fmac_f32 v41, v68, v73 
             
	;;#ASMEND
	;; [unrolled: 5-line block ×16, first 2 shown]
	s_waitcnt lgkmcnt(1)
	;;#ASMSTART
	
             v_fmac_f32 v55, v68, v76 
             
	;;#ASMEND
	;;#ASMSTART
	
             v_fmac_f32 v54, v68, v77 
             
	;;#ASMEND
	;; [unrolled: 5-line block ×16, first 2 shown]
	ds_load_b128 v[68:71], v66 offset:4608
	s_waitcnt lgkmcnt(1)
	;;#ASMSTART
	
             v_fmac_f32 v24, v80, v72 
             
	;;#ASMEND
	;;#ASMSTART
	
             v_fmac_f32 v26, v80, v73 
             
	;;#ASMEND
	;; [unrolled: 5-line block ×16, first 2 shown]
	ds_load_b128 v[72:75], v67 offset:20992
	;;#ASMSTART
	
             v_fmac_f32 v62, v80, v76 
             
	;;#ASMEND
	;;#ASMSTART
	
             v_fmac_f32 v63, v80, v77 
             
	;;#ASMEND
	;; [unrolled: 5-line block ×16, first 2 shown]
	ds_load_b128 v[76:79], v67 offset:21248
	ds_load_b128 v[80:83], v66 offset:4864
	s_waitcnt lgkmcnt(2)
	;;#ASMSTART
	
             v_fmac_f32 v44, v68, v72 
             
	;;#ASMEND
	;;#ASMSTART
	
             v_fmac_f32 v41, v68, v73 
             
	;;#ASMEND
	;; [unrolled: 5-line block ×16, first 2 shown]
	s_waitcnt lgkmcnt(1)
	;;#ASMSTART
	
             v_fmac_f32 v55, v68, v76 
             
	;;#ASMEND
	;;#ASMSTART
	
             v_fmac_f32 v54, v68, v77 
             
	;;#ASMEND
	;; [unrolled: 5-line block ×16, first 2 shown]
	ds_load_b128 v[68:71], v66 offset:5120
	s_waitcnt lgkmcnt(1)
	;;#ASMSTART
	
             v_fmac_f32 v24, v80, v72 
             
	;;#ASMEND
	;;#ASMSTART
	
             v_fmac_f32 v26, v80, v73 
             
	;;#ASMEND
	;; [unrolled: 5-line block ×16, first 2 shown]
	ds_load_b128 v[72:75], v67 offset:21504
	;;#ASMSTART
	
             v_fmac_f32 v62, v80, v76 
             
	;;#ASMEND
	;;#ASMSTART
	
             v_fmac_f32 v63, v80, v77 
             
	;;#ASMEND
	;; [unrolled: 5-line block ×16, first 2 shown]
	ds_load_b128 v[76:79], v67 offset:21760
	ds_load_b128 v[80:83], v66 offset:5376
	s_waitcnt lgkmcnt(2)
	;;#ASMSTART
	
             v_fmac_f32 v44, v68, v72 
             
	;;#ASMEND
	;;#ASMSTART
	
             v_fmac_f32 v41, v68, v73 
             
	;;#ASMEND
	;; [unrolled: 5-line block ×16, first 2 shown]
	s_waitcnt lgkmcnt(1)
	;;#ASMSTART
	
             v_fmac_f32 v55, v68, v76 
             
	;;#ASMEND
	;;#ASMSTART
	
             v_fmac_f32 v54, v68, v77 
             
	;;#ASMEND
	;; [unrolled: 5-line block ×16, first 2 shown]
	ds_load_b128 v[68:71], v66 offset:5632
	s_waitcnt lgkmcnt(1)
	;;#ASMSTART
	
             v_fmac_f32 v24, v80, v72 
             
	;;#ASMEND
	;;#ASMSTART
	
             v_fmac_f32 v26, v80, v73 
             
	;;#ASMEND
	;; [unrolled: 5-line block ×16, first 2 shown]
	ds_load_b128 v[72:75], v67 offset:22016
	;;#ASMSTART
	
             v_fmac_f32 v62, v80, v76 
             
	;;#ASMEND
	;;#ASMSTART
	
             v_fmac_f32 v63, v80, v77 
             
	;;#ASMEND
	;; [unrolled: 5-line block ×16, first 2 shown]
	ds_load_b128 v[76:79], v67 offset:22272
	ds_load_b128 v[80:83], v66 offset:5888
	s_waitcnt lgkmcnt(2)
	;;#ASMSTART
	
             v_fmac_f32 v44, v68, v72 
             
	;;#ASMEND
	;;#ASMSTART
	
             v_fmac_f32 v41, v68, v73 
             
	;;#ASMEND
	;; [unrolled: 5-line block ×16, first 2 shown]
	s_waitcnt lgkmcnt(1)
	;;#ASMSTART
	
             v_fmac_f32 v55, v68, v76 
             
	;;#ASMEND
	;;#ASMSTART
	
             v_fmac_f32 v54, v68, v77 
             
	;;#ASMEND
	;; [unrolled: 5-line block ×16, first 2 shown]
	ds_load_b128 v[68:71], v66 offset:6144
	s_waitcnt lgkmcnt(1)
	;;#ASMSTART
	
             v_fmac_f32 v24, v80, v72 
             
	;;#ASMEND
	;;#ASMSTART
	
             v_fmac_f32 v26, v80, v73 
             
	;;#ASMEND
	;; [unrolled: 5-line block ×16, first 2 shown]
	ds_load_b128 v[72:75], v67 offset:22528
	;;#ASMSTART
	
             v_fmac_f32 v62, v80, v76 
             
	;;#ASMEND
	;;#ASMSTART
	
             v_fmac_f32 v63, v80, v77 
             
	;;#ASMEND
	;; [unrolled: 5-line block ×16, first 2 shown]
	ds_load_b128 v[76:79], v67 offset:22784
	ds_load_b128 v[80:83], v66 offset:6400
	s_waitcnt lgkmcnt(2)
	;;#ASMSTART
	
             v_fmac_f32 v44, v68, v72 
             
	;;#ASMEND
	;;#ASMSTART
	
             v_fmac_f32 v41, v68, v73 
             
	;;#ASMEND
	;; [unrolled: 5-line block ×16, first 2 shown]
	s_waitcnt lgkmcnt(1)
	;;#ASMSTART
	
             v_fmac_f32 v55, v68, v76 
             
	;;#ASMEND
	;;#ASMSTART
	
             v_fmac_f32 v54, v68, v77 
             
	;;#ASMEND
	;; [unrolled: 5-line block ×16, first 2 shown]
	ds_load_b128 v[68:71], v66 offset:6656
	s_waitcnt lgkmcnt(1)
	;;#ASMSTART
	
             v_fmac_f32 v24, v80, v72 
             
	;;#ASMEND
	;;#ASMSTART
	
             v_fmac_f32 v26, v80, v73 
             
	;;#ASMEND
	;; [unrolled: 5-line block ×16, first 2 shown]
	ds_load_b128 v[72:75], v67 offset:23040
	;;#ASMSTART
	
             v_fmac_f32 v62, v80, v76 
             
	;;#ASMEND
	;;#ASMSTART
	
             v_fmac_f32 v63, v80, v77 
             
	;;#ASMEND
	;; [unrolled: 5-line block ×16, first 2 shown]
	ds_load_b128 v[76:79], v67 offset:23296
	ds_load_b128 v[80:83], v66 offset:6912
	s_waitcnt lgkmcnt(2)
	;;#ASMSTART
	
             v_fmac_f32 v44, v68, v72 
             
	;;#ASMEND
	;;#ASMSTART
	
             v_fmac_f32 v41, v68, v73 
             
	;;#ASMEND
	;; [unrolled: 5-line block ×16, first 2 shown]
	s_waitcnt lgkmcnt(1)
	;;#ASMSTART
	
             v_fmac_f32 v55, v68, v76 
             
	;;#ASMEND
	;;#ASMSTART
	
             v_fmac_f32 v54, v68, v77 
             
	;;#ASMEND
	;;#ASMSTART
	
             v_fmac_f32 v51, v68, v78 
             
	;;#ASMEND
	;;#ASMSTART
	
             v_fmac_f32 v52, v68, v79 
             
	;;#ASMEND
	;;#ASMSTART
	
             v_fmac_f32 v46, v69, v76 
             
	;;#ASMEND
	;;#ASMSTART
	
             v_fmac_f32 v47, v69, v77 
             
	;;#ASMEND
	;;#ASMSTART
	
             v_fmac_f32 v43, v69, v78 
             
	;;#ASMEND
	;;#ASMSTART
	
             v_fmac_f32 v45, v69, v79 
             
	;;#ASMEND
	;;#ASMSTART
	
             v_fmac_f32 v36, v70, v76 
             
	;;#ASMEND
	;;#ASMSTART
	
             v_fmac_f32 v38, v70, v77 
             
	;;#ASMEND
	;;#ASMSTART
	
             v_fmac_f32 v32, v70, v78 
             
	;;#ASMEND
	;;#ASMSTART
	
             v_fmac_f32 v33, v70, v79 
             
	;;#ASMEND
	;;#ASMSTART
	
             v_fmac_f32 v25, v71, v76 
             
	;;#ASMEND
	;;#ASMSTART
	
             v_fmac_f32 v20, v71, v77 
             
	;;#ASMEND
	;;#ASMSTART
	
             v_fmac_f32 v15, v71, v78 
             
	;;#ASMEND
	;;#ASMSTART
	
             v_fmac_f32 v16, v71, v79 
             
	;;#ASMEND
	ds_load_b128 v[68:71], v66 offset:7168
	s_waitcnt lgkmcnt(1)
	;;#ASMSTART
	
             v_fmac_f32 v24, v80, v72 
             
	;;#ASMEND
	;;#ASMSTART
	
             v_fmac_f32 v26, v80, v73 
             
	;;#ASMEND
	;; [unrolled: 5-line block ×16, first 2 shown]
	ds_load_b128 v[72:75], v67 offset:23552
	;;#ASMSTART
	
             v_fmac_f32 v62, v80, v76 
             
	;;#ASMEND
	;;#ASMSTART
	
             v_fmac_f32 v63, v80, v77 
             
	;;#ASMEND
	;;#ASMSTART
	
             v_fmac_f32 v60, v80, v78 
             
	;;#ASMEND
	;;#ASMSTART
	
             v_fmac_f32 v61, v80, v79 
             
	;;#ASMEND
	;;#ASMSTART
	
             v_fmac_f32 v58, v81, v76 
             
	;;#ASMEND
	;;#ASMSTART
	
             v_fmac_f32 v59, v81, v77 
             
	;;#ASMEND
	;;#ASMSTART
	
             v_fmac_f32 v56, v81, v78 
             
	;;#ASMEND
	;;#ASMSTART
	
             v_fmac_f32 v57, v81, v79 
             
	;;#ASMEND
	;;#ASMSTART
	
             v_fmac_f32 v53, v82, v76 
             
	;;#ASMEND
	;;#ASMSTART
	
             v_fmac_f32 v50, v82, v77 
             
	;;#ASMEND
	;;#ASMSTART
	
             v_fmac_f32 v48, v82, v78 
             
	;;#ASMEND
	;;#ASMSTART
	
             v_fmac_f32 v49, v82, v79 
             
	;;#ASMEND
	;;#ASMSTART
	
             v_fmac_f32 v34, v83, v76 
             
	;;#ASMEND
	;;#ASMSTART
	
             v_fmac_f32 v37, v83, v77 
             
	;;#ASMEND
	;;#ASMSTART
	
             v_fmac_f32 v39, v83, v78 
             
	;;#ASMEND
	;;#ASMSTART
	
             v_fmac_f32 v1, v83, v79 
             
	;;#ASMEND
	ds_load_b128 v[76:79], v67 offset:23808
	ds_load_b128 v[80:83], v66 offset:7424
	s_waitcnt lgkmcnt(2)
	;;#ASMSTART
	
             v_fmac_f32 v44, v68, v72 
             
	;;#ASMEND
	;;#ASMSTART
	
             v_fmac_f32 v41, v68, v73 
             
	;;#ASMEND
	;; [unrolled: 5-line block ×16, first 2 shown]
	s_waitcnt lgkmcnt(1)
	;;#ASMSTART
	
             v_fmac_f32 v55, v68, v76 
             
	;;#ASMEND
	;;#ASMSTART
	
             v_fmac_f32 v54, v68, v77 
             
	;;#ASMEND
	;; [unrolled: 5-line block ×16, first 2 shown]
	ds_load_b128 v[68:71], v66 offset:7680
	s_waitcnt lgkmcnt(1)
	;;#ASMSTART
	
             v_fmac_f32 v24, v80, v72 
             
	;;#ASMEND
	;;#ASMSTART
	
             v_fmac_f32 v26, v80, v73 
             
	;;#ASMEND
	;; [unrolled: 5-line block ×16, first 2 shown]
	ds_load_b128 v[72:75], v67 offset:24064
	;;#ASMSTART
	
             v_fmac_f32 v62, v80, v76 
             
	;;#ASMEND
	;;#ASMSTART
	
             v_fmac_f32 v63, v80, v77 
             
	;;#ASMEND
	;; [unrolled: 5-line block ×16, first 2 shown]
	ds_load_b128 v[76:79], v67 offset:24320
	s_clause 0x3
	s_load_b64 s[2:3], s[0:1], 0x158
	s_load_b32 s6, s[0:1], 0x164
	s_load_b32 s4, s[0:1], 0x170
	;; [unrolled: 1-line block ×3, first 2 shown]
	ds_load_b128 v[80:83], v66 offset:7936
	s_waitcnt lgkmcnt(0)
	;;#ASMSTART
	
             v_fmac_f32 v44, v68, v72 
             
	;;#ASMEND
	v_add_nc_u32_e32 v65, s14, v65
	;;#ASMSTART
	
             v_fmac_f32 v41, v68, v73 
             
	;;#ASMEND
	;;#ASMSTART
	
             v_fmac_f32 v42, v68, v74 
             
	;;#ASMEND
	;; [unrolled: 5-line block ×13, first 2 shown]
	v_mul_lo_u32 v66, v65, s2
	;;#ASMSTART
	
             v_fmac_f32 v9, v71, v74 
             
	;;#ASMEND
	;;#ASMSTART
	
             v_fmac_f32 v7, v71, v75 
             
	;;#ASMEND
	;; [unrolled: 5-line block ×34, first 2 shown]
	v_mad_u64_u32 v[74:75], null, v64, s3, v[66:67]
	s_lshl_b32 s22, s5, 2
	;;#ASMSTART
	
             v_fmac_f32 v62, v80, v76 
             
	;;#ASMEND
	;;#ASMSTART
	
             v_fmac_f32 v63, v80, v77 
             
	;;#ASMEND
	;;#ASMSTART
	
             v_fmac_f32 v60, v80, v78 
             
	;;#ASMEND
	;;#ASMSTART
	
             v_fmac_f32 v61, v80, v79 
             
	;;#ASMEND
	;;#ASMSTART
	
             v_fmac_f32 v58, v81, v76 
             
	;;#ASMEND
	s_delay_alu instid0(VALU_DEP_1)
	v_lshlrev_b32_e32 v66, 2, v74
	;;#ASMSTART
	
             v_fmac_f32 v59, v81, v77 
             
	;;#ASMEND
	;;#ASMSTART
	
             v_fmac_f32 v56, v81, v78 
             
	;;#ASMEND
	;;#ASMSTART
	
             v_fmac_f32 v57, v81, v79 
             
	;;#ASMEND
	;;#ASMSTART
	
             v_fmac_f32 v53, v82, v76 
             
	;;#ASMEND
	;;#ASMSTART
	
             v_fmac_f32 v50, v82, v77 
             
	;;#ASMEND
	;;#ASMSTART
	
             v_fmac_f32 v48, v82, v78 
             
	;;#ASMEND
	;;#ASMSTART
	
             v_fmac_f32 v49, v82, v79 
             
	;;#ASMEND
	;;#ASMSTART
	
             v_fmac_f32 v34, v83, v76 
             
	;;#ASMEND
	;;#ASMSTART
	
             v_fmac_f32 v37, v83, v77 
             
	;;#ASMEND
	;;#ASMSTART
	
             v_fmac_f32 v39, v83, v78 
             
	;;#ASMEND
	;;#ASMSTART
	
             v_fmac_f32 v1, v83, v79 
             
	;;#ASMEND
	buffer_load_b128 v[66:69], v66, s[20:23], 0 offen
	s_lshl_b32 s3, s3, 6
	v_add_nc_u32_e32 v82, s2, v74
	v_add_lshl_u32 v70, v74, s3, 2
	v_cmp_gt_i32_e32 vcc_lo, s4, v64
	v_add_nc_u32_e32 v130, 64, v64
	s_delay_alu instid0(VALU_DEP_4)
	v_lshlrev_b32_e32 v74, 2, v82
	buffer_load_b128 v[70:73], v70, s[20:23], 0 offen
	v_add_lshl_u32 v78, v82, s3, 2
	v_add_nc_u32_e32 v86, s2, v82
	s_clause 0x1
	buffer_load_b128 v[74:77], v74, s[20:23], 0 offen
	buffer_load_b128 v[78:81], v78, s[20:23], 0 offen
	v_lshlrev_b32_e32 v82, 2, v86
	v_add_nc_u32_e32 v98, s2, v86
	v_add_lshl_u32 v87, v86, s3, 2
	buffer_load_b128 v[82:85], v82, s[20:23], 0 offen
	v_mad_u64_u32 v[106:107], null, s2, 61, v[98:99]
	buffer_load_b128 v[86:89], v87, s[20:23], 0 offen
	v_add_lshl_u32 v94, v98, s3, 2
	v_add_nc_u32_e32 v110, s2, v106
	v_add_lshl_u32 v102, v106, s3, 2
	buffer_load_b128 v[94:97], v94, s[20:23], 0 offen
	v_add_nc_u32_e32 v122, s2, v110
	v_add_lshl_u32 v111, v110, s3, 2
	buffer_load_b128 v[102:105], v102, s[20:23], 0 offen
	v_add_nc_u32_e32 v126, s2, v122
	v_cmp_gt_i32_e64 s2, s6, v65
	v_lshlrev_b32_e32 v114, 2, v122
	v_add_lshl_u32 v118, v122, s3, 2
	s_delay_alu instid0(VALU_DEP_4)
	v_lshlrev_b32_e32 v122, 2, v126
	v_add_lshl_u32 v126, v126, s3, 2
	s_and_b32 s3, s2, vcc_lo
	s_clause 0x3
	buffer_load_b128 v[114:117], v114, s[20:23], 0 offen
	buffer_load_b128 v[118:121], v118, s[20:23], 0 offen
	;; [unrolled: 1-line block ×4, first 2 shown]
	s_waitcnt vmcnt(11)
	v_cndmask_b32_e64 v67, 0, v67, s3
	v_lshlrev_b32_e32 v90, 2, v98
	v_cndmask_b32_e64 v69, 0, v69, s3
	v_cndmask_b32_e64 v66, 0, v66, s3
	v_cndmask_b32_e64 v68, 0, v68, s3
	v_add_f32_e32 v41, v41, v67
	buffer_load_b128 v[90:93], v90, s[20:23], 0 offen
	v_lshlrev_b32_e32 v98, 2, v106
	v_add_f32_e32 v40, v40, v69
	v_cmp_gt_i32_e64 s3, s4, v130
	v_dual_max_f32 v67, 0, v41 :: v_dual_add_f32 v44, v44, v66
	buffer_load_b128 v[98:101], v98, s[20:23], 0 offen
	v_dual_max_f32 v69, 0, v40 :: v_dual_lshlrev_b32 v106, 2, v110
	buffer_load_b128 v[110:113], v111, s[20:23], 0 offen
	v_or_b32_e32 v131, 1, v65
	v_add_f32_e32 v42, v42, v68
	buffer_load_b128 v[106:109], v106, s[20:23], 0 offen
	s_clause 0x3
	s_load_b64 s[4:5], s[0:1], 0x1a8
	s_load_b32 s7, s[0:1], 0x1b4
	s_load_b32 s9, s[0:1], 0x1c0
	;; [unrolled: 1-line block ×3, first 2 shown]
	s_and_b32 s0, s2, s3
	v_cmp_gt_i32_e64 s1, s6, v131
	s_waitcnt vmcnt(14)
	v_cndmask_b32_e64 v70, 0, v70, s0
	v_max_f32_e32 v68, 0, v42
	v_cndmask_b32_e64 v42, 0, v71, s0
	v_max_f32_e32 v66, 0, v44
	v_cndmask_b32_e64 v44, 0, v73, s0
	v_add_f32_e32 v41, v55, v70
	v_cndmask_b32_e64 v40, 0, v72, s0
	s_and_b32 s0, s1, vcc_lo
	s_waitcnt vmcnt(13)
	v_cndmask_b32_e64 v55, 0, v75, s0
	v_dual_max_f32 v70, 0, v41 :: v_dual_add_f32 v41, v54, v42
	v_cndmask_b32_e64 v42, 0, v77, s0
	v_cndmask_b32_e64 v54, 0, v74, s0
	s_delay_alu instid0(VALU_DEP_4)
	v_add_f32_e32 v35, v35, v55
	s_waitcnt lgkmcnt(0)
	v_cmp_gt_i32_e64 s2, s7, v131
	v_max_f32_e32 v71, 0, v41
	v_add_f32_e32 v29, v29, v42
	v_add_f32_e32 v41, v52, v44
	v_cndmask_b32_e64 v44, 0, v76, s0
	s_and_b32 s0, s1, s3
	v_or_b32_e32 v52, 2, v65
	v_max_f32_e32 v77, 0, v29
	s_waitcnt vmcnt(12)
	v_cndmask_b32_e64 v29, 0, v80, s0
	v_dual_add_f32 v30, v30, v54 :: v_dual_max_f32 v75, 0, v35
	v_cmp_gt_i32_e64 s1, s6, v52
	v_cndmask_b32_e64 v35, 0, v78, s0
	s_delay_alu instid0(VALU_DEP_3) | instskip(SKIP_4) | instid1(VALU_DEP_1)
	v_dual_add_f32 v29, v43, v29 :: v_dual_max_f32 v74, 0, v30
	v_add_f32_e32 v30, v31, v44
	v_cndmask_b32_e64 v31, 0, v81, s0
	v_dual_add_f32 v40, v51, v40 :: v_dual_max_f32 v73, 0, v41
	s_lshl_b32 s14, s8, 2
	v_dual_add_f32 v31, v45, v31 :: v_dual_max_f32 v72, 0, v40
	v_cndmask_b32_e64 v40, 0, v79, s0
	s_and_b32 s0, s1, vcc_lo
	s_waitcnt vmcnt(11)
	v_cndmask_b32_e64 v42, 0, v83, s0
	v_cndmask_b32_e64 v44, 0, v84, s0
	v_max_f32_e32 v43, 0, v31
	v_add_nc_u32_e32 v83, 0x41, v65
	s_delay_alu instid0(VALU_DEP_4) | instskip(SKIP_3) | instid1(VALU_DEP_2)
	v_add_f32_e32 v21, v21, v42
	v_max_f32_e32 v76, 0, v30
	v_dual_add_f32 v30, v46, v35 :: v_dual_add_f32 v35, v47, v40
	v_add_f32_e32 v23, v23, v44
	v_dual_max_f32 v45, 0, v21 :: v_dual_max_f32 v40, 0, v30
	s_delay_alu instid0(VALU_DEP_3)
	v_max_f32_e32 v41, 0, v35
	v_cndmask_b32_e64 v35, 0, v82, s0
	v_cndmask_b32_e64 v30, 0, v85, s0
	s_and_b32 s0, s1, s3
	v_or_b32_e32 v82, 3, v65
	s_waitcnt vmcnt(10)
	v_cndmask_b32_e64 v21, 0, v86, s0
	v_add_f32_e32 v19, v19, v35
	s_delay_alu instid0(VALU_DEP_3) | instskip(NEXT) | instid1(VALU_DEP_2)
	v_cmp_gt_i32_e64 s1, s6, v82
	v_dual_add_f32 v21, v36, v21 :: v_dual_max_f32 v44, 0, v19
	v_cndmask_b32_e64 v19, 0, v89, s0
	s_delay_alu instid0(VALU_DEP_1) | instskip(NEXT) | instid1(VALU_DEP_1)
	v_dual_add_f32 v18, v18, v30 :: v_dual_add_f32 v19, v33, v19
	v_dual_max_f32 v42, 0, v29 :: v_dual_max_f32 v47, 0, v18
	v_cndmask_b32_e64 v18, 0, v88, s0
	s_delay_alu instid0(VALU_DEP_1)
	v_dual_max_f32 v29, 0, v21 :: v_dual_add_f32 v18, v32, v18
	v_max_f32_e32 v46, 0, v23
	v_cndmask_b32_e64 v23, 0, v87, s0
	s_and_b32 s0, s1, vcc_lo
	s_waitcnt vmcnt(3)
	v_cndmask_b32_e64 v31, 0, v90, s0
	v_cndmask_b32_e64 v35, 0, v93, s0
	;; [unrolled: 1-line block ×3, first 2 shown]
	s_delay_alu instid0(VALU_DEP_3) | instskip(NEXT) | instid1(VALU_DEP_2)
	v_add_f32_e32 v10, v10, v31
	v_dual_add_f32 v23, v38, v23 :: v_dual_add_f32 v8, v8, v21
	s_delay_alu instid0(VALU_DEP_4) | instskip(NEXT) | instid1(VALU_DEP_3)
	v_dual_add_f32 v7, v7, v35 :: v_dual_add_nc_u32 v38, 64, v65
	v_max_f32_e32 v78, 0, v10
	s_delay_alu instid0(VALU_DEP_3)
	v_dual_max_f32 v30, 0, v23 :: v_dual_max_f32 v79, 0, v8
	v_cndmask_b32_e64 v23, 0, v92, s0
	s_and_b32 s0, s1, s3
	v_max_f32_e32 v81, 0, v7
	v_cmp_gt_i32_e64 s1, s6, v38
	v_cndmask_b32_e64 v10, 0, v97, s0
	v_add_f32_e32 v9, v9, v23
	v_max_f32_e32 v31, 0, v18
	v_cndmask_b32_e64 v18, 0, v94, s0
	s_delay_alu instid0(VALU_DEP_4) | instskip(NEXT) | instid1(VALU_DEP_2)
	v_add_f32_e32 v10, v16, v10
	v_add_f32_e32 v8, v25, v18
	v_cndmask_b32_e64 v18, 0, v96, s0
	s_delay_alu instid0(VALU_DEP_2) | instskip(NEXT) | instid1(VALU_DEP_2)
	v_dual_max_f32 v32, 0, v19 :: v_dual_max_f32 v7, 0, v8
	v_dual_add_f32 v15, v15, v18 :: v_dual_max_f32 v80, 0, v9
	v_cndmask_b32_e64 v9, 0, v95, s0
	s_and_b32 s0, s1, vcc_lo
	s_waitcnt vmcnt(2)
	v_cndmask_b32_e64 v19, 0, v101, s0
	s_delay_alu instid0(VALU_DEP_2) | instskip(SKIP_2) | instid1(VALU_DEP_3)
	v_add_f32_e32 v8, v20, v9
	v_cndmask_b32_e64 v20, 0, v99, s0
	v_cndmask_b32_e64 v9, 0, v98, s0
	v_dual_add_f32 v19, v17, v19 :: v_dual_max_f32 v8, 0, v8
	s_delay_alu instid0(VALU_DEP_3)
	v_add_f32_e32 v18, v26, v20
	v_cndmask_b32_e64 v20, 0, v100, s0
	s_and_b32 s0, s1, s3
	v_add_f32_e32 v16, v24, v9
	v_cndmask_b32_e64 v23, 0, v104, s0
	v_cmp_gt_i32_e64 s1, s6, v83
	v_max_f32_e32 v9, 0, v15
	v_cndmask_b32_e64 v21, 0, v105, s0
	v_max_f32_e32 v15, 0, v16
	v_dual_add_f32 v23, v60, v23 :: v_dual_max_f32 v16, 0, v18
	v_add_f32_e32 v18, v22, v20
	v_cndmask_b32_e64 v20, 0, v102, s0
	v_cndmask_b32_e64 v22, 0, v103, s0
	s_and_b32 s0, s1, vcc_lo
	v_add_nc_u32_e32 v60, 0x42, v65
	s_waitcnt vmcnt(0)
	v_cndmask_b32_e64 v25, 0, v108, s0
	v_add_f32_e32 v20, v62, v20
	v_add_f32_e32 v22, v63, v22
	v_max_f32_e32 v17, 0, v18
	v_cndmask_b32_e64 v26, 0, v109, s0
	v_add_f32_e32 v14, v14, v25
	v_dual_max_f32 v18, 0, v19 :: v_dual_max_f32 v19, 0, v20
	v_max_f32_e32 v20, 0, v22
	v_cndmask_b32_e64 v22, 0, v106, s0
	v_cndmask_b32_e64 v24, 0, v107, s0
	s_and_b32 s0, s1, s3
	v_dual_max_f32 v10, 0, v10 :: v_dual_add_f32 v33, v61, v21
	s_delay_alu instid0(VALU_DEP_3) | instskip(SKIP_3) | instid1(VALU_DEP_4)
	v_add_f32_e32 v11, v11, v22
	v_max_f32_e32 v21, 0, v23
	v_add_f32_e32 v13, v13, v24
	v_cmp_gt_i32_e64 s1, s6, v60
	v_max_f32_e32 v23, 0, v11
	v_add_f32_e32 v11, v12, v26
	v_cndmask_b32_e64 v12, 0, v110, s0
	v_max_f32_e32 v25, 0, v14
	v_cndmask_b32_e64 v14, 0, v111, s0
	v_max_f32_e32 v24, 0, v13
	s_delay_alu instid0(VALU_DEP_4)
	v_dual_max_f32 v26, 0, v11 :: v_dual_add_f32 v11, v58, v12
	v_max_f32_e32 v22, 0, v33
	v_cndmask_b32_e64 v33, 0, v112, s0
	v_cndmask_b32_e64 v13, 0, v113, s0
	s_and_b32 s0, s1, vcc_lo
	v_max_f32_e32 v11, 0, v11
	v_cndmask_b32_e64 v51, 0, v115, s0
	v_dual_add_f32 v33, v56, v33 :: v_dual_add_f32 v12, v59, v14
	v_cndmask_b32_e64 v14, 0, v114, s0
	v_cndmask_b32_e64 v35, 0, v117, s0
	;; [unrolled: 1-line block ×3, first 2 shown]
	s_and_b32 s0, s1, s3
	v_dual_add_f32 v3, v3, v51 :: v_dual_add_f32 v36, v57, v13
	v_add_f32_e32 v5, v5, v14
	v_max_f32_e32 v13, 0, v33
	v_cndmask_b32_e64 v33, 0, v118, s0
	v_max_f32_e32 v12, 0, v12
	s_delay_alu instid0(VALU_DEP_4) | instskip(SKIP_1) | instid1(VALU_DEP_4)
	v_dual_max_f32 v54, 0, v5 :: v_dual_add_f32 v5, v6, v55
	v_dual_max_f32 v55, 0, v3 :: v_dual_max_f32 v14, 0, v36
	v_dual_add_f32 v3, v4, v35 :: v_dual_add_f32 v4, v53, v33
	v_add_nc_u32_e32 v58, 0x43, v65
	v_cndmask_b32_e64 v6, 0, v121, s0
	v_cndmask_b32_e64 v33, 0, v120, s0
	s_delay_alu instid0(VALU_DEP_4) | instskip(SKIP_2) | instid1(VALU_DEP_4)
	v_max_f32_e32 v57, 0, v3
	v_max_f32_e32 v3, 0, v4
	v_cmp_gt_i32_e64 s1, s6, v58
	v_dual_add_f32 v6, v49, v6 :: v_dual_add_f32 v33, v48, v33
	s_delay_alu instid0(VALU_DEP_2) | instskip(SKIP_4) | instid1(VALU_DEP_3)
	s_and_b32 vcc_lo, s1, vcc_lo
	v_max_f32_e32 v56, 0, v5
	v_cndmask_b32_e64 v5, 0, v119, s0
	v_dual_cndmask_b32 v35, 0, v125 :: v_dual_cndmask_b32 v36, 0, v123
	v_cmp_gt_i32_e64 s0, s7, v65
	v_dual_add_f32 v4, v50, v5 :: v_dual_cndmask_b32 v5, 0, v122
	s_delay_alu instid0(VALU_DEP_3) | instskip(SKIP_3) | instid1(VALU_DEP_2)
	v_add_f32_e32 v2, v2, v36
	v_cndmask_b32_e32 v36, 0, v124, vcc_lo
	s_and_b32 vcc_lo, s1, s3
	s_lshl_b32 s3, s5, 6
	v_dual_add_f32 v0, v0, v5 :: v_dual_max_f32 v49, 0, v2
	s_delay_alu instid0(VALU_DEP_2) | instskip(SKIP_3) | instid1(VALU_DEP_4)
	v_dual_add_f32 v2, v27, v36 :: v_dual_add_f32 v27, v28, v35
	v_dual_max_f32 v4, 0, v4 :: v_dual_max_f32 v5, 0, v33
	v_dual_max_f32 v6, 0, v6 :: v_dual_cndmask_b32 v35, 0, v128
	v_dual_cndmask_b32 v33, 0, v126 :: v_dual_cndmask_b32 v28, 0, v127
	v_max_f32_e32 v51, 0, v27
	v_cmp_gt_i32_e64 s1, s9, v130
	s_delay_alu instid0(VALU_DEP_4) | instskip(NEXT) | instid1(VALU_DEP_1)
	v_add_f32_e32 v35, v39, v35
	v_dual_max_f32 v35, 0, v35 :: v_dual_max_f32 v50, 0, v2
	v_add_f32_e32 v2, v34, v33
	v_max_f32_e32 v48, 0, v0
	v_mul_lo_u32 v0, v65, s4
	s_delay_alu instid0(VALU_DEP_3) | instskip(NEXT) | instid1(VALU_DEP_2)
	v_dual_add_f32 v34, v37, v28 :: v_dual_max_f32 v33, 0, v2
	v_mad_u64_u32 v[27:28], null, v64, s5, v[0:1]
	s_delay_alu instid0(VALU_DEP_1) | instskip(SKIP_2) | instid1(VALU_DEP_3)
	v_add_nc_u32_e32 v0, s3, v27
	v_cndmask_b32_e32 v36, 0, v129, vcc_lo
	v_cmp_gt_i32_e32 vcc_lo, s9, v64
	v_add_nc_u32_e32 v37, s4, v0
	s_delay_alu instid0(VALU_DEP_3)
	v_add_f32_e32 v1, v1, v36
	s_and_b32 s6, s0, vcc_lo
	s_and_b32 s0, s0, s1
	v_cndmask_b32_e64 v2, 0x80000000, 0, s6
	v_cndmask_b32_e64 v28, 0x80000000, 0, s0
	s_and_b32 s0, s2, s1
	s_and_b32 s2, s2, vcc_lo
	v_cndmask_b32_e64 v39, 0x80000000, 0, s0
	v_lshl_add_u32 v2, v27, 2, v2
	v_lshl_add_u32 v0, v0, 2, v28
	v_cmp_gt_i32_e64 s0, s7, v52
	v_max_f32_e32 v36, 0, v1
	v_lshl_add_u32 v28, v37, 2, v39
	s_clause 0x2
	buffer_store_b128 v[66:69], v2, s[12:15], 0 offen
	buffer_store_b128 v[70:73], v0, s[12:15], 0 offen
	;; [unrolled: 1-line block ×3, first 2 shown]
	v_add_nc_u32_e32 v2, s4, v37
	v_add_nc_u32_e32 v0, s4, v27
	v_cndmask_b32_e64 v1, 0x80000000, 0, s2
	v_cmp_gt_i32_e64 s2, s7, v82
	s_and_b32 s6, s0, vcc_lo
	s_and_b32 s0, s0, s1
	v_add_nc_u32_e32 v37, s4, v2
	v_add_nc_u32_e32 v27, s4, v0
	v_cndmask_b32_e64 v28, 0x80000000, 0, s6
	v_cndmask_b32_e64 v39, 0x80000000, 0, s0
	s_and_b32 s0, s2, s1
	v_subrev_nc_u32_e32 v41, s3, v37
	v_cndmask_b32_e64 v40, 0x80000000, 0, s0
	v_lshl_add_u32 v0, v0, 2, v1
	v_lshl_add_u32 v1, v27, 2, v28
	s_and_b32 s0, s2, vcc_lo
	v_lshl_add_u32 v2, v2, 2, v39
	v_lshl_add_u32 v27, v37, 2, v40
	v_cndmask_b32_e64 v37, 0x80000000, 0, s0
	v_cmp_gt_i32_e64 s0, s7, v58
	s_add_i32 s2, s5, s4
	v_lshlrev_b32_e32 v28, 2, v41
	s_clause 0x3
	buffer_store_b128 v[74:77], v0, s[12:15], 0 offen
	buffer_store_b128 v[44:47], v1, s[12:15], 0 offen
	buffer_store_b128 v[29:32], v2, s[12:15], 0 offen
	buffer_store_b128 v[7:10], v27, s[12:15], 0 offen
	v_lshl_add_u32 v1, s2, 6, v41
	v_cmp_ge_i32_e64 s2, s7, v58
	s_and_b32 s8, s0, vcc_lo
	s_and_b32 s0, s0, s1
	v_add_nc_u32_e32 v0, v28, v37
	v_cndmask_b32_e64 v2, 0x80000000, 0, s8
	v_cndmask_b32_e64 v7, 0x80000000, 0, s0
	v_subrev_nc_u32_e32 v8, s4, v1
	s_and_b32 s0, s2, s1
	s_lshl_b32 s6, s4, 8
	v_cndmask_b32_e64 v9, 0x80000000, 0, s0
	v_cmp_gt_i32_e64 s0, s7, v60
	v_max_f32_e32 v34, 0, v34
	v_add3_u32 v2, v2, s6, v28
	buffer_store_b128 v[78:81], v0, s[12:15], 0 offen
	v_lshl_add_u32 v0, v1, 2, v7
	v_subrev_nc_u32_e32 v1, s3, v8
	v_cmp_ge_i32_e64 s2, s7, v60
	v_lshl_add_u32 v7, v8, 2, v9
	s_and_b32 s0, s0, vcc_lo
	s_clause 0x1
	buffer_store_b128 v[48:51], v2, s[12:15], 0 offen
	buffer_store_b128 v[33:36], v0, s[12:15], 0 offen
	v_subrev_nc_u32_e32 v0, s4, v1
	v_cndmask_b32_e64 v2, 0x80000000, 0, s0
	v_cmp_gt_i32_e64 s0, s7, v83
	s_and_b32 s2, s2, vcc_lo
	buffer_store_b128 v[3:6], v7, s[12:15], 0 offen
	v_cndmask_b32_e64 v4, 0x80000000, 0, s2
	v_cmp_gt_i32_e64 s2, s7, v38
	v_add_nc_u32_e32 v3, s3, v0
	s_and_b32 s0, s0, s1
	v_lshl_add_u32 v1, v1, 2, v2
	v_cndmask_b32_e64 v6, 0x80000000, 0, s0
	v_cmp_ge_i32_e64 s0, s7, v83
	s_and_b32 s2, s2, vcc_lo
	v_subrev_nc_u32_e32 v5, s4, v3
	v_cndmask_b32_e64 v7, 0x80000000, 0, s2
	s_lshl_b32 s2, s5, 8
	s_and_b32 s0, s0, s1
	v_lshl_add_u32 v0, v0, 2, v4
	v_lshlrev_b32_e32 v5, 2, v5
	v_cndmask_b32_e64 v8, 0x80000000, 0, s0
	v_subrev_nc_u32_e32 v7, s2, v7
	v_lshl_add_u32 v2, v3, 2, v6
	s_delay_alu instid0(VALU_DEP_3) | instskip(NEXT) | instid1(VALU_DEP_3)
	v_add_nc_u32_e32 v3, v5, v8
	v_add_nc_u32_e32 v4, v7, v5
	s_clause 0x4
	buffer_store_b128 v[54:57], v1, s[12:15], 0 offen
	buffer_store_b128 v[23:26], v0, s[12:15], 0 offen
	;; [unrolled: 1-line block ×5, first 2 shown]
	s_nop 0
	s_sendmsg sendmsg(MSG_DEALLOC_VGPRS)
	s_endpgm
	.section	.rodata,"a",@progbits
	.p2align	6, 0x0
	.amdhsa_kernel _ZN2ck16tensor_operation6device12_GLOBAL__N_137kernel_grouped_conv_fwd_dl_multiple_dINS_32GridwiseGemmDlMultipleD_km_kn_mnILi256EffNS_5TupleIJfEEEfNS0_12element_wise11PassThroughES8_NS7_7AddReluELNS_25InMemoryDataOperationEnumE0ENS_16TensorDescriptorINS5_IJNS_5EmbedINS5_IJiiiEEESD_Lb0EEENS_11PassThroughIiEENS_3PadIiiiLb0EEESG_SG_NSC_INS5_IJiiEEESJ_Lb0EEESG_NS_23Merge_v2_magic_divisionISJ_EESM_NS_8RightPadIiiLb0EEESO_NS_7UnMergeISJ_Lb0EEESG_EEENS5_IJNS_8SequenceIJLi0EEEENSS_IJLi1EEEENSS_IJLi2EEEENSS_IJLi3EEEENSS_IJLi4EEEENSS_IJLi5EEEENSS_IJLi6EEEENSS_IJLi7ELi9EEEENSS_IJLi8ELi10EEEENSS_IJLi11EEEENSS_IJLi12EEEENSS_IJLi14EEEENSS_IJLi13EEEEEEENS5_IJNSS_IJLi1ELi2ELi3EEEESX_SY_SZ_NSS_IJLi7EEEENSS_IJLi8ELi9EEEENSS_IJLi10EEEES12_S13_S15_S14_NSS_IJLi15ELi16EEEENSS_IJLi17EEEEEEENSS_IJLi15ELi17ELi16EEEElEENSB_INS5_IJSQ_SO_SO_SQ_SG_EEENS5_IJST_SU_SV_SX_SW_EEENS5_IJNSS_IJLi1ELi2EEEESW_SX_NSS_IJLi5ELi6EEEES18_EEENSS_IJLi5ELi7ELi6EEEElEENSB_INS5_IJSK_SO_SO_EEENS5_IJST_SU_SV_EEENS5_IJS1I_SW_SX_EEENSS_IJLi3ELi4EEEElEELi128ELi128ELi16ELi1ELi4ELi4ELi1ENSS_IJLi8ELi2EEEES1S_NSS_IJLi8ELi1ELi1ELi1EEEENSS_IJLi2ELi1ELi128ELi1EEEENSS_IJLi1ELi2ELi0ELi3EEEES1V_NSS_IJLi4ELi1ELi1ELi1EEEES1V_NSS_IJLi1ELi1ELi1ELi1EEEES1T_S1U_S1V_S1V_S1W_S1V_S1X_NSS_IJLi0ELi1ELi2ELi3ELi4ELi5EEEELi5ELi4EEEfNS5_IJPKfEEEfS8_S8_S9_NSB_INS5_IJSE_SG_SI_SG_SG_SK_SG_SM_SM_SO_SO_SQ_SG_SG_NSP_INS5_IJiNS_17integral_constantIiLi128EEEEEELb0EEENSF_INS23_IiLi1EEEEEEEENS5_IJST_SU_SV_SW_SX_SY_SZ_S10_S11_S12_S13_S14_S15_NSS_IJLi15EEEES1C_NSS_IJLi16EEEEEEENS5_IJS17_SX_SY_SZ_S18_S19_S1A_S12_S13_S15_S14_S1B_S1C_NSS_IJLi18EEEENSS_IJLi19ELi20EEEENSS_IJLi21EEEEEEENSS_IJLi18ELi19ELi20ELi21EEEElEENSB_INS5_IJSQ_SO_SO_SQ_SG_SG_S26_S28_EEENS5_IJST_SU_SV_SX_SW_SY_S18_SZ_EEENS5_IJS1I_SW_SX_S1J_S18_NSS_IJLi8EEEENSS_IJLi9ELi10EEEES12_EEENSS_IJLi8ELi9ELi10ELi11EEEElEENS5_IJNSB_INS5_IJSK_SO_SO_NSP_INS5_IJiNS23_IiLi2EEENS23_IiLi64EEEEEELb0EEES2T_EEENS5_IJST_SU_SV_SW_SX_EEENS5_IJS1I_SW_SX_NSS_IJLi5ELi6ELi7EEEENSS_IJLi8ELi9ELi10EEEEEEENSS_IJLi5ELi6ELi7ELi8ELi9ELi10EEEElEEEEES30_NS_31BlockToCTileMap_M00_N00_M01_N01ILi128ELi128ES1R_Lb0EEENS1_30ComputePtrOffsetOfStridedBatchILi1ELi1ELi1EvEELb0ELb0EEEvPKT0_S38_T1_PT2_T3_T4_T5_iT6_T7_T8_T9_T10_T11_
		.amdhsa_group_segment_fixed_size 32768
		.amdhsa_private_segment_fixed_size 0
		.amdhsa_kernarg_size 904
		.amdhsa_user_sgpr_count 15
		.amdhsa_user_sgpr_dispatch_ptr 0
		.amdhsa_user_sgpr_queue_ptr 0
		.amdhsa_user_sgpr_kernarg_segment_ptr 1
		.amdhsa_user_sgpr_dispatch_id 0
		.amdhsa_user_sgpr_private_segment_size 0
		.amdhsa_wavefront_size32 1
		.amdhsa_uses_dynamic_stack 0
		.amdhsa_enable_private_segment 0
		.amdhsa_system_sgpr_workgroup_id_x 1
		.amdhsa_system_sgpr_workgroup_id_y 0
		.amdhsa_system_sgpr_workgroup_id_z 0
		.amdhsa_system_sgpr_workgroup_info 0
		.amdhsa_system_vgpr_workitem_id 0
		.amdhsa_next_free_vgpr 132
		.amdhsa_next_free_sgpr 44
		.amdhsa_reserve_vcc 1
		.amdhsa_float_round_mode_32 0
		.amdhsa_float_round_mode_16_64 0
		.amdhsa_float_denorm_mode_32 3
		.amdhsa_float_denorm_mode_16_64 3
		.amdhsa_dx10_clamp 1
		.amdhsa_ieee_mode 1
		.amdhsa_fp16_overflow 0
		.amdhsa_workgroup_processor_mode 1
		.amdhsa_memory_ordered 1
		.amdhsa_forward_progress 0
		.amdhsa_shared_vgpr_count 0
		.amdhsa_exception_fp_ieee_invalid_op 0
		.amdhsa_exception_fp_denorm_src 0
		.amdhsa_exception_fp_ieee_div_zero 0
		.amdhsa_exception_fp_ieee_overflow 0
		.amdhsa_exception_fp_ieee_underflow 0
		.amdhsa_exception_fp_ieee_inexact 0
		.amdhsa_exception_int_div_zero 0
	.end_amdhsa_kernel
	.section	.text._ZN2ck16tensor_operation6device12_GLOBAL__N_137kernel_grouped_conv_fwd_dl_multiple_dINS_32GridwiseGemmDlMultipleD_km_kn_mnILi256EffNS_5TupleIJfEEEfNS0_12element_wise11PassThroughES8_NS7_7AddReluELNS_25InMemoryDataOperationEnumE0ENS_16TensorDescriptorINS5_IJNS_5EmbedINS5_IJiiiEEESD_Lb0EEENS_11PassThroughIiEENS_3PadIiiiLb0EEESG_SG_NSC_INS5_IJiiEEESJ_Lb0EEESG_NS_23Merge_v2_magic_divisionISJ_EESM_NS_8RightPadIiiLb0EEESO_NS_7UnMergeISJ_Lb0EEESG_EEENS5_IJNS_8SequenceIJLi0EEEENSS_IJLi1EEEENSS_IJLi2EEEENSS_IJLi3EEEENSS_IJLi4EEEENSS_IJLi5EEEENSS_IJLi6EEEENSS_IJLi7ELi9EEEENSS_IJLi8ELi10EEEENSS_IJLi11EEEENSS_IJLi12EEEENSS_IJLi14EEEENSS_IJLi13EEEEEEENS5_IJNSS_IJLi1ELi2ELi3EEEESX_SY_SZ_NSS_IJLi7EEEENSS_IJLi8ELi9EEEENSS_IJLi10EEEES12_S13_S15_S14_NSS_IJLi15ELi16EEEENSS_IJLi17EEEEEEENSS_IJLi15ELi17ELi16EEEElEENSB_INS5_IJSQ_SO_SO_SQ_SG_EEENS5_IJST_SU_SV_SX_SW_EEENS5_IJNSS_IJLi1ELi2EEEESW_SX_NSS_IJLi5ELi6EEEES18_EEENSS_IJLi5ELi7ELi6EEEElEENSB_INS5_IJSK_SO_SO_EEENS5_IJST_SU_SV_EEENS5_IJS1I_SW_SX_EEENSS_IJLi3ELi4EEEElEELi128ELi128ELi16ELi1ELi4ELi4ELi1ENSS_IJLi8ELi2EEEES1S_NSS_IJLi8ELi1ELi1ELi1EEEENSS_IJLi2ELi1ELi128ELi1EEEENSS_IJLi1ELi2ELi0ELi3EEEES1V_NSS_IJLi4ELi1ELi1ELi1EEEES1V_NSS_IJLi1ELi1ELi1ELi1EEEES1T_S1U_S1V_S1V_S1W_S1V_S1X_NSS_IJLi0ELi1ELi2ELi3ELi4ELi5EEEELi5ELi4EEEfNS5_IJPKfEEEfS8_S8_S9_NSB_INS5_IJSE_SG_SI_SG_SG_SK_SG_SM_SM_SO_SO_SQ_SG_SG_NSP_INS5_IJiNS_17integral_constantIiLi128EEEEEELb0EEENSF_INS23_IiLi1EEEEEEEENS5_IJST_SU_SV_SW_SX_SY_SZ_S10_S11_S12_S13_S14_S15_NSS_IJLi15EEEES1C_NSS_IJLi16EEEEEEENS5_IJS17_SX_SY_SZ_S18_S19_S1A_S12_S13_S15_S14_S1B_S1C_NSS_IJLi18EEEENSS_IJLi19ELi20EEEENSS_IJLi21EEEEEEENSS_IJLi18ELi19ELi20ELi21EEEElEENSB_INS5_IJSQ_SO_SO_SQ_SG_SG_S26_S28_EEENS5_IJST_SU_SV_SX_SW_SY_S18_SZ_EEENS5_IJS1I_SW_SX_S1J_S18_NSS_IJLi8EEEENSS_IJLi9ELi10EEEES12_EEENSS_IJLi8ELi9ELi10ELi11EEEElEENS5_IJNSB_INS5_IJSK_SO_SO_NSP_INS5_IJiNS23_IiLi2EEENS23_IiLi64EEEEEELb0EEES2T_EEENS5_IJST_SU_SV_SW_SX_EEENS5_IJS1I_SW_SX_NSS_IJLi5ELi6ELi7EEEENSS_IJLi8ELi9ELi10EEEEEEENSS_IJLi5ELi6ELi7ELi8ELi9ELi10EEEElEEEEES30_NS_31BlockToCTileMap_M00_N00_M01_N01ILi128ELi128ES1R_Lb0EEENS1_30ComputePtrOffsetOfStridedBatchILi1ELi1ELi1EvEELb0ELb0EEEvPKT0_S38_T1_PT2_T3_T4_T5_iT6_T7_T8_T9_T10_T11_,"axG",@progbits,_ZN2ck16tensor_operation6device12_GLOBAL__N_137kernel_grouped_conv_fwd_dl_multiple_dINS_32GridwiseGemmDlMultipleD_km_kn_mnILi256EffNS_5TupleIJfEEEfNS0_12element_wise11PassThroughES8_NS7_7AddReluELNS_25InMemoryDataOperationEnumE0ENS_16TensorDescriptorINS5_IJNS_5EmbedINS5_IJiiiEEESD_Lb0EEENS_11PassThroughIiEENS_3PadIiiiLb0EEESG_SG_NSC_INS5_IJiiEEESJ_Lb0EEESG_NS_23Merge_v2_magic_divisionISJ_EESM_NS_8RightPadIiiLb0EEESO_NS_7UnMergeISJ_Lb0EEESG_EEENS5_IJNS_8SequenceIJLi0EEEENSS_IJLi1EEEENSS_IJLi2EEEENSS_IJLi3EEEENSS_IJLi4EEEENSS_IJLi5EEEENSS_IJLi6EEEENSS_IJLi7ELi9EEEENSS_IJLi8ELi10EEEENSS_IJLi11EEEENSS_IJLi12EEEENSS_IJLi14EEEENSS_IJLi13EEEEEEENS5_IJNSS_IJLi1ELi2ELi3EEEESX_SY_SZ_NSS_IJLi7EEEENSS_IJLi8ELi9EEEENSS_IJLi10EEEES12_S13_S15_S14_NSS_IJLi15ELi16EEEENSS_IJLi17EEEEEEENSS_IJLi15ELi17ELi16EEEElEENSB_INS5_IJSQ_SO_SO_SQ_SG_EEENS5_IJST_SU_SV_SX_SW_EEENS5_IJNSS_IJLi1ELi2EEEESW_SX_NSS_IJLi5ELi6EEEES18_EEENSS_IJLi5ELi7ELi6EEEElEENSB_INS5_IJSK_SO_SO_EEENS5_IJST_SU_SV_EEENS5_IJS1I_SW_SX_EEENSS_IJLi3ELi4EEEElEELi128ELi128ELi16ELi1ELi4ELi4ELi1ENSS_IJLi8ELi2EEEES1S_NSS_IJLi8ELi1ELi1ELi1EEEENSS_IJLi2ELi1ELi128ELi1EEEENSS_IJLi1ELi2ELi0ELi3EEEES1V_NSS_IJLi4ELi1ELi1ELi1EEEES1V_NSS_IJLi1ELi1ELi1ELi1EEEES1T_S1U_S1V_S1V_S1W_S1V_S1X_NSS_IJLi0ELi1ELi2ELi3ELi4ELi5EEEELi5ELi4EEEfNS5_IJPKfEEEfS8_S8_S9_NSB_INS5_IJSE_SG_SI_SG_SG_SK_SG_SM_SM_SO_SO_SQ_SG_SG_NSP_INS5_IJiNS_17integral_constantIiLi128EEEEEELb0EEENSF_INS23_IiLi1EEEEEEEENS5_IJST_SU_SV_SW_SX_SY_SZ_S10_S11_S12_S13_S14_S15_NSS_IJLi15EEEES1C_NSS_IJLi16EEEEEEENS5_IJS17_SX_SY_SZ_S18_S19_S1A_S12_S13_S15_S14_S1B_S1C_NSS_IJLi18EEEENSS_IJLi19ELi20EEEENSS_IJLi21EEEEEEENSS_IJLi18ELi19ELi20ELi21EEEElEENSB_INS5_IJSQ_SO_SO_SQ_SG_SG_S26_S28_EEENS5_IJST_SU_SV_SX_SW_SY_S18_SZ_EEENS5_IJS1I_SW_SX_S1J_S18_NSS_IJLi8EEEENSS_IJLi9ELi10EEEES12_EEENSS_IJLi8ELi9ELi10ELi11EEEElEENS5_IJNSB_INS5_IJSK_SO_SO_NSP_INS5_IJiNS23_IiLi2EEENS23_IiLi64EEEEEELb0EEES2T_EEENS5_IJST_SU_SV_SW_SX_EEENS5_IJS1I_SW_SX_NSS_IJLi5ELi6ELi7EEEENSS_IJLi8ELi9ELi10EEEEEEENSS_IJLi5ELi6ELi7ELi8ELi9ELi10EEEElEEEEES30_NS_31BlockToCTileMap_M00_N00_M01_N01ILi128ELi128ES1R_Lb0EEENS1_30ComputePtrOffsetOfStridedBatchILi1ELi1ELi1EvEELb0ELb0EEEvPKT0_S38_T1_PT2_T3_T4_T5_iT6_T7_T8_T9_T10_T11_,comdat
.Lfunc_end6:
	.size	_ZN2ck16tensor_operation6device12_GLOBAL__N_137kernel_grouped_conv_fwd_dl_multiple_dINS_32GridwiseGemmDlMultipleD_km_kn_mnILi256EffNS_5TupleIJfEEEfNS0_12element_wise11PassThroughES8_NS7_7AddReluELNS_25InMemoryDataOperationEnumE0ENS_16TensorDescriptorINS5_IJNS_5EmbedINS5_IJiiiEEESD_Lb0EEENS_11PassThroughIiEENS_3PadIiiiLb0EEESG_SG_NSC_INS5_IJiiEEESJ_Lb0EEESG_NS_23Merge_v2_magic_divisionISJ_EESM_NS_8RightPadIiiLb0EEESO_NS_7UnMergeISJ_Lb0EEESG_EEENS5_IJNS_8SequenceIJLi0EEEENSS_IJLi1EEEENSS_IJLi2EEEENSS_IJLi3EEEENSS_IJLi4EEEENSS_IJLi5EEEENSS_IJLi6EEEENSS_IJLi7ELi9EEEENSS_IJLi8ELi10EEEENSS_IJLi11EEEENSS_IJLi12EEEENSS_IJLi14EEEENSS_IJLi13EEEEEEENS5_IJNSS_IJLi1ELi2ELi3EEEESX_SY_SZ_NSS_IJLi7EEEENSS_IJLi8ELi9EEEENSS_IJLi10EEEES12_S13_S15_S14_NSS_IJLi15ELi16EEEENSS_IJLi17EEEEEEENSS_IJLi15ELi17ELi16EEEElEENSB_INS5_IJSQ_SO_SO_SQ_SG_EEENS5_IJST_SU_SV_SX_SW_EEENS5_IJNSS_IJLi1ELi2EEEESW_SX_NSS_IJLi5ELi6EEEES18_EEENSS_IJLi5ELi7ELi6EEEElEENSB_INS5_IJSK_SO_SO_EEENS5_IJST_SU_SV_EEENS5_IJS1I_SW_SX_EEENSS_IJLi3ELi4EEEElEELi128ELi128ELi16ELi1ELi4ELi4ELi1ENSS_IJLi8ELi2EEEES1S_NSS_IJLi8ELi1ELi1ELi1EEEENSS_IJLi2ELi1ELi128ELi1EEEENSS_IJLi1ELi2ELi0ELi3EEEES1V_NSS_IJLi4ELi1ELi1ELi1EEEES1V_NSS_IJLi1ELi1ELi1ELi1EEEES1T_S1U_S1V_S1V_S1W_S1V_S1X_NSS_IJLi0ELi1ELi2ELi3ELi4ELi5EEEELi5ELi4EEEfNS5_IJPKfEEEfS8_S8_S9_NSB_INS5_IJSE_SG_SI_SG_SG_SK_SG_SM_SM_SO_SO_SQ_SG_SG_NSP_INS5_IJiNS_17integral_constantIiLi128EEEEEELb0EEENSF_INS23_IiLi1EEEEEEEENS5_IJST_SU_SV_SW_SX_SY_SZ_S10_S11_S12_S13_S14_S15_NSS_IJLi15EEEES1C_NSS_IJLi16EEEEEEENS5_IJS17_SX_SY_SZ_S18_S19_S1A_S12_S13_S15_S14_S1B_S1C_NSS_IJLi18EEEENSS_IJLi19ELi20EEEENSS_IJLi21EEEEEEENSS_IJLi18ELi19ELi20ELi21EEEElEENSB_INS5_IJSQ_SO_SO_SQ_SG_SG_S26_S28_EEENS5_IJST_SU_SV_SX_SW_SY_S18_SZ_EEENS5_IJS1I_SW_SX_S1J_S18_NSS_IJLi8EEEENSS_IJLi9ELi10EEEES12_EEENSS_IJLi8ELi9ELi10ELi11EEEElEENS5_IJNSB_INS5_IJSK_SO_SO_NSP_INS5_IJiNS23_IiLi2EEENS23_IiLi64EEEEEELb0EEES2T_EEENS5_IJST_SU_SV_SW_SX_EEENS5_IJS1I_SW_SX_NSS_IJLi5ELi6ELi7EEEENSS_IJLi8ELi9ELi10EEEEEEENSS_IJLi5ELi6ELi7ELi8ELi9ELi10EEEElEEEEES30_NS_31BlockToCTileMap_M00_N00_M01_N01ILi128ELi128ES1R_Lb0EEENS1_30ComputePtrOffsetOfStridedBatchILi1ELi1ELi1EvEELb0ELb0EEEvPKT0_S38_T1_PT2_T3_T4_T5_iT6_T7_T8_T9_T10_T11_, .Lfunc_end6-_ZN2ck16tensor_operation6device12_GLOBAL__N_137kernel_grouped_conv_fwd_dl_multiple_dINS_32GridwiseGemmDlMultipleD_km_kn_mnILi256EffNS_5TupleIJfEEEfNS0_12element_wise11PassThroughES8_NS7_7AddReluELNS_25InMemoryDataOperationEnumE0ENS_16TensorDescriptorINS5_IJNS_5EmbedINS5_IJiiiEEESD_Lb0EEENS_11PassThroughIiEENS_3PadIiiiLb0EEESG_SG_NSC_INS5_IJiiEEESJ_Lb0EEESG_NS_23Merge_v2_magic_divisionISJ_EESM_NS_8RightPadIiiLb0EEESO_NS_7UnMergeISJ_Lb0EEESG_EEENS5_IJNS_8SequenceIJLi0EEEENSS_IJLi1EEEENSS_IJLi2EEEENSS_IJLi3EEEENSS_IJLi4EEEENSS_IJLi5EEEENSS_IJLi6EEEENSS_IJLi7ELi9EEEENSS_IJLi8ELi10EEEENSS_IJLi11EEEENSS_IJLi12EEEENSS_IJLi14EEEENSS_IJLi13EEEEEEENS5_IJNSS_IJLi1ELi2ELi3EEEESX_SY_SZ_NSS_IJLi7EEEENSS_IJLi8ELi9EEEENSS_IJLi10EEEES12_S13_S15_S14_NSS_IJLi15ELi16EEEENSS_IJLi17EEEEEEENSS_IJLi15ELi17ELi16EEEElEENSB_INS5_IJSQ_SO_SO_SQ_SG_EEENS5_IJST_SU_SV_SX_SW_EEENS5_IJNSS_IJLi1ELi2EEEESW_SX_NSS_IJLi5ELi6EEEES18_EEENSS_IJLi5ELi7ELi6EEEElEENSB_INS5_IJSK_SO_SO_EEENS5_IJST_SU_SV_EEENS5_IJS1I_SW_SX_EEENSS_IJLi3ELi4EEEElEELi128ELi128ELi16ELi1ELi4ELi4ELi1ENSS_IJLi8ELi2EEEES1S_NSS_IJLi8ELi1ELi1ELi1EEEENSS_IJLi2ELi1ELi128ELi1EEEENSS_IJLi1ELi2ELi0ELi3EEEES1V_NSS_IJLi4ELi1ELi1ELi1EEEES1V_NSS_IJLi1ELi1ELi1ELi1EEEES1T_S1U_S1V_S1V_S1W_S1V_S1X_NSS_IJLi0ELi1ELi2ELi3ELi4ELi5EEEELi5ELi4EEEfNS5_IJPKfEEEfS8_S8_S9_NSB_INS5_IJSE_SG_SI_SG_SG_SK_SG_SM_SM_SO_SO_SQ_SG_SG_NSP_INS5_IJiNS_17integral_constantIiLi128EEEEEELb0EEENSF_INS23_IiLi1EEEEEEEENS5_IJST_SU_SV_SW_SX_SY_SZ_S10_S11_S12_S13_S14_S15_NSS_IJLi15EEEES1C_NSS_IJLi16EEEEEEENS5_IJS17_SX_SY_SZ_S18_S19_S1A_S12_S13_S15_S14_S1B_S1C_NSS_IJLi18EEEENSS_IJLi19ELi20EEEENSS_IJLi21EEEEEEENSS_IJLi18ELi19ELi20ELi21EEEElEENSB_INS5_IJSQ_SO_SO_SQ_SG_SG_S26_S28_EEENS5_IJST_SU_SV_SX_SW_SY_S18_SZ_EEENS5_IJS1I_SW_SX_S1J_S18_NSS_IJLi8EEEENSS_IJLi9ELi10EEEES12_EEENSS_IJLi8ELi9ELi10ELi11EEEElEENS5_IJNSB_INS5_IJSK_SO_SO_NSP_INS5_IJiNS23_IiLi2EEENS23_IiLi64EEEEEELb0EEES2T_EEENS5_IJST_SU_SV_SW_SX_EEENS5_IJS1I_SW_SX_NSS_IJLi5ELi6ELi7EEEENSS_IJLi8ELi9ELi10EEEEEEENSS_IJLi5ELi6ELi7ELi8ELi9ELi10EEEElEEEEES30_NS_31BlockToCTileMap_M00_N00_M01_N01ILi128ELi128ES1R_Lb0EEENS1_30ComputePtrOffsetOfStridedBatchILi1ELi1ELi1EvEELb0ELb0EEEvPKT0_S38_T1_PT2_T3_T4_T5_iT6_T7_T8_T9_T10_T11_
                                        ; -- End function
	.section	.AMDGPU.csdata,"",@progbits
; Kernel info:
; codeLenInByte = 25340
; NumSgprs: 46
; NumVgprs: 132
; ScratchSize: 0
; MemoryBound: 0
; FloatMode: 240
; IeeeMode: 1
; LDSByteSize: 32768 bytes/workgroup (compile time only)
; SGPRBlocks: 5
; VGPRBlocks: 16
; NumSGPRsForWavesPerEU: 46
; NumVGPRsForWavesPerEU: 132
; Occupancy: 8
; WaveLimiterHint : 0
; COMPUTE_PGM_RSRC2:SCRATCH_EN: 0
; COMPUTE_PGM_RSRC2:USER_SGPR: 15
; COMPUTE_PGM_RSRC2:TRAP_HANDLER: 0
; COMPUTE_PGM_RSRC2:TGID_X_EN: 1
; COMPUTE_PGM_RSRC2:TGID_Y_EN: 0
; COMPUTE_PGM_RSRC2:TGID_Z_EN: 0
; COMPUTE_PGM_RSRC2:TIDIG_COMP_CNT: 0
	.text
	.p2align	2                               ; -- Begin function _ZN2ck32GridwiseGemmDlMultipleD_km_kn_mnILi256EffNS_5TupleIJfEEEfNS_16tensor_operation12element_wise11PassThroughES5_NS4_7AddReluELNS_25InMemoryDataOperationEnumE0ENS_16TensorDescriptorINS1_IJNS_5EmbedINS1_IJiiiiEEESA_Lb0EEENS_11PassThroughIiEENS_3PadIiiiLb0EEESF_SD_SD_NS9_INS1_IJiiEEESG_Lb0EEESH_SD_NS_23Merge_v2_magic_divisionINS1_IJiiiEEEEESK_NS_8RightPadIiiLb0EEESM_NS_7UnMergeISG_Lb0EEESD_EEENS1_IJNS_8SequenceIJLi0EEEENSQ_IJLi1EEEENSQ_IJLi2EEEENSQ_IJLi3EEEENSQ_IJLi4EEEENSQ_IJLi5EEEENSQ_IJLi6EEEENSQ_IJLi7EEEENSQ_IJLi8EEEENSQ_IJLi9ELi11ELi13EEEENSQ_IJLi10ELi12ELi14EEEENSQ_IJLi15EEEENSQ_IJLi16EEEENSQ_IJLi18EEEENSQ_IJLi17EEEEEEENS1_IJNSQ_IJLi1ELi2ELi3ELi4EEEESW_SX_SY_SZ_NSQ_IJLi9EEEENSQ_IJLi10ELi11EEEENSQ_IJLi12ELi13EEEENSQ_IJLi14EEEES12_S13_S15_S14_NSQ_IJLi19ELi20EEEENSQ_IJLi21EEEEEEENSQ_IJLi19ELi21ELi20EEEElEENS8_INS1_IJSO_SM_SM_SO_SD_EEENS1_IJSR_SS_ST_SV_SU_EEENS1_IJNSQ_IJLi1ELi2EEEESU_SV_NSQ_IJLi5ELi6EEEESY_EEENSQ_IJLi5ELi7ELi6EEEElEENS8_INS1_IJSH_SM_SM_EEENS1_IJSR_SS_ST_EEENS1_IJS1J_SU_SV_EEENSQ_IJLi3ELi4EEEElEELi128ELi128ELi16ELi1ELi4ELi4ELi1ENSQ_IJLi8ELi2EEEES1T_NSQ_IJLi8ELi1ELi1ELi1EEEENSQ_IJLi2ELi1ELi128ELi1EEEENSQ_IJLi1ELi2ELi0ELi3EEEES1W_NSQ_IJLi4ELi1ELi1ELi1EEEES1W_NSQ_IJLi1ELi1ELi1ELi1EEEES1U_S1V_S1W_S1W_S1X_S1W_S1Y_NSQ_IJLi0ELi1ELi2ELi3ELi4ELi5EEEELi5ELi4EE3RunINS1_IJNS8_INS1_IJSH_SM_SM_NSN_INS1_IJiNS_17integral_constantIiLi2EEENS22_IiLi64EEEEEELb0EEES26_EEENS1_IJSR_SS_ST_SU_SV_EEENS1_IJS1J_SU_SV_NSQ_IJLi5ELi6ELi7EEEENSQ_IJLi8ELi9ELi10EEEEEEENSQ_IJLi5ELi6ELi7ELi8ELi9ELi10EEEElEEEEELb1ELb1ENS_31BlockToCTileMap_M00_N00_M01_N01ILi128ELi128ES1S_Lb0EEEEEvPKfS2I_NS1_IJS2I_EEEPfPvRKS5_S2N_RKS6_RKNS8_INS1_IJSB_SD_SF_SF_SD_SD_SH_SH_SD_SK_SK_SM_SM_SO_SD_SD_NSN_INS1_IJiNS22_IiLi128EEEEEELb0EEENSC_INS22_IiLi1EEEEEEEENS1_IJSR_SS_ST_SU_SV_SW_SX_SY_SZ_S10_S11_S12_S13_S14_S15_NSQ_IJLi19EEEES1D_NSQ_IJLi20EEEEEEENS1_IJS17_SW_SX_SY_SZ_S18_S19_S1A_S1B_S12_S13_S15_S14_S1C_S1D_NSQ_IJLi22EEEENSQ_IJLi23ELi24EEEENSQ_IJLi25EEEEEEENSQ_IJLi22ELi23ELi24ELi25EEEElEERKNS8_INS1_IJSO_SM_SM_SO_SD_SD_S2S_S2U_EEENS1_IJSR_SS_ST_SV_SU_SW_SY_SX_EEENS1_IJS1J_SU_SV_S1K_SY_SZ_NSQ_IJLi9ELi10EEEENSQ_IJLi11EEEEEEENSQ_IJLi8ELi9ELi10ELi11EEEElEERKT_RKS2D_RKT2_NS22_IbXT0_EEENS22_IbXT1_EEE
	.type	_ZN2ck32GridwiseGemmDlMultipleD_km_kn_mnILi256EffNS_5TupleIJfEEEfNS_16tensor_operation12element_wise11PassThroughES5_NS4_7AddReluELNS_25InMemoryDataOperationEnumE0ENS_16TensorDescriptorINS1_IJNS_5EmbedINS1_IJiiiiEEESA_Lb0EEENS_11PassThroughIiEENS_3PadIiiiLb0EEESF_SD_SD_NS9_INS1_IJiiEEESG_Lb0EEESH_SD_NS_23Merge_v2_magic_divisionINS1_IJiiiEEEEESK_NS_8RightPadIiiLb0EEESM_NS_7UnMergeISG_Lb0EEESD_EEENS1_IJNS_8SequenceIJLi0EEEENSQ_IJLi1EEEENSQ_IJLi2EEEENSQ_IJLi3EEEENSQ_IJLi4EEEENSQ_IJLi5EEEENSQ_IJLi6EEEENSQ_IJLi7EEEENSQ_IJLi8EEEENSQ_IJLi9ELi11ELi13EEEENSQ_IJLi10ELi12ELi14EEEENSQ_IJLi15EEEENSQ_IJLi16EEEENSQ_IJLi18EEEENSQ_IJLi17EEEEEEENS1_IJNSQ_IJLi1ELi2ELi3ELi4EEEESW_SX_SY_SZ_NSQ_IJLi9EEEENSQ_IJLi10ELi11EEEENSQ_IJLi12ELi13EEEENSQ_IJLi14EEEES12_S13_S15_S14_NSQ_IJLi19ELi20EEEENSQ_IJLi21EEEEEEENSQ_IJLi19ELi21ELi20EEEElEENS8_INS1_IJSO_SM_SM_SO_SD_EEENS1_IJSR_SS_ST_SV_SU_EEENS1_IJNSQ_IJLi1ELi2EEEESU_SV_NSQ_IJLi5ELi6EEEESY_EEENSQ_IJLi5ELi7ELi6EEEElEENS8_INS1_IJSH_SM_SM_EEENS1_IJSR_SS_ST_EEENS1_IJS1J_SU_SV_EEENSQ_IJLi3ELi4EEEElEELi128ELi128ELi16ELi1ELi4ELi4ELi1ENSQ_IJLi8ELi2EEEES1T_NSQ_IJLi8ELi1ELi1ELi1EEEENSQ_IJLi2ELi1ELi128ELi1EEEENSQ_IJLi1ELi2ELi0ELi3EEEES1W_NSQ_IJLi4ELi1ELi1ELi1EEEES1W_NSQ_IJLi1ELi1ELi1ELi1EEEES1U_S1V_S1W_S1W_S1X_S1W_S1Y_NSQ_IJLi0ELi1ELi2ELi3ELi4ELi5EEEELi5ELi4EE3RunINS1_IJNS8_INS1_IJSH_SM_SM_NSN_INS1_IJiNS_17integral_constantIiLi2EEENS22_IiLi64EEEEEELb0EEES26_EEENS1_IJSR_SS_ST_SU_SV_EEENS1_IJS1J_SU_SV_NSQ_IJLi5ELi6ELi7EEEENSQ_IJLi8ELi9ELi10EEEEEEENSQ_IJLi5ELi6ELi7ELi8ELi9ELi10EEEElEEEEELb1ELb1ENS_31BlockToCTileMap_M00_N00_M01_N01ILi128ELi128ES1S_Lb0EEEEEvPKfS2I_NS1_IJS2I_EEEPfPvRKS5_S2N_RKS6_RKNS8_INS1_IJSB_SD_SF_SF_SD_SD_SH_SH_SD_SK_SK_SM_SM_SO_SD_SD_NSN_INS1_IJiNS22_IiLi128EEEEEELb0EEENSC_INS22_IiLi1EEEEEEEENS1_IJSR_SS_ST_SU_SV_SW_SX_SY_SZ_S10_S11_S12_S13_S14_S15_NSQ_IJLi19EEEES1D_NSQ_IJLi20EEEEEEENS1_IJS17_SW_SX_SY_SZ_S18_S19_S1A_S1B_S12_S13_S15_S14_S1C_S1D_NSQ_IJLi22EEEENSQ_IJLi23ELi24EEEENSQ_IJLi25EEEEEEENSQ_IJLi22ELi23ELi24ELi25EEEElEERKNS8_INS1_IJSO_SM_SM_SO_SD_SD_S2S_S2U_EEENS1_IJSR_SS_ST_SV_SU_SW_SY_SX_EEENS1_IJS1J_SU_SV_S1K_SY_SZ_NSQ_IJLi9ELi10EEEENSQ_IJLi11EEEEEEENSQ_IJLi8ELi9ELi10ELi11EEEElEERKT_RKS2D_RKT2_NS22_IbXT0_EEENS22_IbXT1_EEE,@function
_ZN2ck32GridwiseGemmDlMultipleD_km_kn_mnILi256EffNS_5TupleIJfEEEfNS_16tensor_operation12element_wise11PassThroughES5_NS4_7AddReluELNS_25InMemoryDataOperationEnumE0ENS_16TensorDescriptorINS1_IJNS_5EmbedINS1_IJiiiiEEESA_Lb0EEENS_11PassThroughIiEENS_3PadIiiiLb0EEESF_SD_SD_NS9_INS1_IJiiEEESG_Lb0EEESH_SD_NS_23Merge_v2_magic_divisionINS1_IJiiiEEEEESK_NS_8RightPadIiiLb0EEESM_NS_7UnMergeISG_Lb0EEESD_EEENS1_IJNS_8SequenceIJLi0EEEENSQ_IJLi1EEEENSQ_IJLi2EEEENSQ_IJLi3EEEENSQ_IJLi4EEEENSQ_IJLi5EEEENSQ_IJLi6EEEENSQ_IJLi7EEEENSQ_IJLi8EEEENSQ_IJLi9ELi11ELi13EEEENSQ_IJLi10ELi12ELi14EEEENSQ_IJLi15EEEENSQ_IJLi16EEEENSQ_IJLi18EEEENSQ_IJLi17EEEEEEENS1_IJNSQ_IJLi1ELi2ELi3ELi4EEEESW_SX_SY_SZ_NSQ_IJLi9EEEENSQ_IJLi10ELi11EEEENSQ_IJLi12ELi13EEEENSQ_IJLi14EEEES12_S13_S15_S14_NSQ_IJLi19ELi20EEEENSQ_IJLi21EEEEEEENSQ_IJLi19ELi21ELi20EEEElEENS8_INS1_IJSO_SM_SM_SO_SD_EEENS1_IJSR_SS_ST_SV_SU_EEENS1_IJNSQ_IJLi1ELi2EEEESU_SV_NSQ_IJLi5ELi6EEEESY_EEENSQ_IJLi5ELi7ELi6EEEElEENS8_INS1_IJSH_SM_SM_EEENS1_IJSR_SS_ST_EEENS1_IJS1J_SU_SV_EEENSQ_IJLi3ELi4EEEElEELi128ELi128ELi16ELi1ELi4ELi4ELi1ENSQ_IJLi8ELi2EEEES1T_NSQ_IJLi8ELi1ELi1ELi1EEEENSQ_IJLi2ELi1ELi128ELi1EEEENSQ_IJLi1ELi2ELi0ELi3EEEES1W_NSQ_IJLi4ELi1ELi1ELi1EEEES1W_NSQ_IJLi1ELi1ELi1ELi1EEEES1U_S1V_S1W_S1W_S1X_S1W_S1Y_NSQ_IJLi0ELi1ELi2ELi3ELi4ELi5EEEELi5ELi4EE3RunINS1_IJNS8_INS1_IJSH_SM_SM_NSN_INS1_IJiNS_17integral_constantIiLi2EEENS22_IiLi64EEEEEELb0EEES26_EEENS1_IJSR_SS_ST_SU_SV_EEENS1_IJS1J_SU_SV_NSQ_IJLi5ELi6ELi7EEEENSQ_IJLi8ELi9ELi10EEEEEEENSQ_IJLi5ELi6ELi7ELi8ELi9ELi10EEEElEEEEELb1ELb1ENS_31BlockToCTileMap_M00_N00_M01_N01ILi128ELi128ES1S_Lb0EEEEEvPKfS2I_NS1_IJS2I_EEEPfPvRKS5_S2N_RKS6_RKNS8_INS1_IJSB_SD_SF_SF_SD_SD_SH_SH_SD_SK_SK_SM_SM_SO_SD_SD_NSN_INS1_IJiNS22_IiLi128EEEEEELb0EEENSC_INS22_IiLi1EEEEEEEENS1_IJSR_SS_ST_SU_SV_SW_SX_SY_SZ_S10_S11_S12_S13_S14_S15_NSQ_IJLi19EEEES1D_NSQ_IJLi20EEEEEEENS1_IJS17_SW_SX_SY_SZ_S18_S19_S1A_S1B_S12_S13_S15_S14_S1C_S1D_NSQ_IJLi22EEEENSQ_IJLi23ELi24EEEENSQ_IJLi25EEEEEEENSQ_IJLi22ELi23ELi24ELi25EEEElEERKNS8_INS1_IJSO_SM_SM_SO_SD_SD_S2S_S2U_EEENS1_IJSR_SS_ST_SV_SU_SW_SY_SX_EEENS1_IJS1J_SU_SV_S1K_SY_SZ_NSQ_IJLi9ELi10EEEENSQ_IJLi11EEEEEEENSQ_IJLi8ELi9ELi10ELi11EEEElEERKT_RKS2D_RKT2_NS22_IbXT0_EEENS22_IbXT1_EEE: ; @_ZN2ck32GridwiseGemmDlMultipleD_km_kn_mnILi256EffNS_5TupleIJfEEEfNS_16tensor_operation12element_wise11PassThroughES5_NS4_7AddReluELNS_25InMemoryDataOperationEnumE0ENS_16TensorDescriptorINS1_IJNS_5EmbedINS1_IJiiiiEEESA_Lb0EEENS_11PassThroughIiEENS_3PadIiiiLb0EEESF_SD_SD_NS9_INS1_IJiiEEESG_Lb0EEESH_SD_NS_23Merge_v2_magic_divisionINS1_IJiiiEEEEESK_NS_8RightPadIiiLb0EEESM_NS_7UnMergeISG_Lb0EEESD_EEENS1_IJNS_8SequenceIJLi0EEEENSQ_IJLi1EEEENSQ_IJLi2EEEENSQ_IJLi3EEEENSQ_IJLi4EEEENSQ_IJLi5EEEENSQ_IJLi6EEEENSQ_IJLi7EEEENSQ_IJLi8EEEENSQ_IJLi9ELi11ELi13EEEENSQ_IJLi10ELi12ELi14EEEENSQ_IJLi15EEEENSQ_IJLi16EEEENSQ_IJLi18EEEENSQ_IJLi17EEEEEEENS1_IJNSQ_IJLi1ELi2ELi3ELi4EEEESW_SX_SY_SZ_NSQ_IJLi9EEEENSQ_IJLi10ELi11EEEENSQ_IJLi12ELi13EEEENSQ_IJLi14EEEES12_S13_S15_S14_NSQ_IJLi19ELi20EEEENSQ_IJLi21EEEEEEENSQ_IJLi19ELi21ELi20EEEElEENS8_INS1_IJSO_SM_SM_SO_SD_EEENS1_IJSR_SS_ST_SV_SU_EEENS1_IJNSQ_IJLi1ELi2EEEESU_SV_NSQ_IJLi5ELi6EEEESY_EEENSQ_IJLi5ELi7ELi6EEEElEENS8_INS1_IJSH_SM_SM_EEENS1_IJSR_SS_ST_EEENS1_IJS1J_SU_SV_EEENSQ_IJLi3ELi4EEEElEELi128ELi128ELi16ELi1ELi4ELi4ELi1ENSQ_IJLi8ELi2EEEES1T_NSQ_IJLi8ELi1ELi1ELi1EEEENSQ_IJLi2ELi1ELi128ELi1EEEENSQ_IJLi1ELi2ELi0ELi3EEEES1W_NSQ_IJLi4ELi1ELi1ELi1EEEES1W_NSQ_IJLi1ELi1ELi1ELi1EEEES1U_S1V_S1W_S1W_S1X_S1W_S1Y_NSQ_IJLi0ELi1ELi2ELi3ELi4ELi5EEEELi5ELi4EE3RunINS1_IJNS8_INS1_IJSH_SM_SM_NSN_INS1_IJiNS_17integral_constantIiLi2EEENS22_IiLi64EEEEEELb0EEES26_EEENS1_IJSR_SS_ST_SU_SV_EEENS1_IJS1J_SU_SV_NSQ_IJLi5ELi6ELi7EEEENSQ_IJLi8ELi9ELi10EEEEEEENSQ_IJLi5ELi6ELi7ELi8ELi9ELi10EEEElEEEEELb1ELb1ENS_31BlockToCTileMap_M00_N00_M01_N01ILi128ELi128ES1S_Lb0EEEEEvPKfS2I_NS1_IJS2I_EEEPfPvRKS5_S2N_RKS6_RKNS8_INS1_IJSB_SD_SF_SF_SD_SD_SH_SH_SD_SK_SK_SM_SM_SO_SD_SD_NSN_INS1_IJiNS22_IiLi128EEEEEELb0EEENSC_INS22_IiLi1EEEEEEEENS1_IJSR_SS_ST_SU_SV_SW_SX_SY_SZ_S10_S11_S12_S13_S14_S15_NSQ_IJLi19EEEES1D_NSQ_IJLi20EEEEEEENS1_IJS17_SW_SX_SY_SZ_S18_S19_S1A_S1B_S12_S13_S15_S14_S1C_S1D_NSQ_IJLi22EEEENSQ_IJLi23ELi24EEEENSQ_IJLi25EEEEEEENSQ_IJLi22ELi23ELi24ELi25EEEElEERKNS8_INS1_IJSO_SM_SM_SO_SD_SD_S2S_S2U_EEENS1_IJSR_SS_ST_SV_SU_SW_SY_SX_EEENS1_IJS1J_SU_SV_S1K_SY_SZ_NSQ_IJLi9ELi10EEEENSQ_IJLi11EEEEEEENSQ_IJLi8ELi9ELi10ELi11EEEElEERKT_RKS2D_RKT2_NS22_IbXT0_EEENS22_IbXT1_EEE
; %bb.0:
	s_waitcnt vmcnt(0) expcnt(0) lgkmcnt(0)
	v_dual_mov_b32 v21, v5 :: v_dual_mov_b32 v20, v4
	v_dual_mov_b32 v23, v1 :: v_dual_mov_b32 v22, v0
	s_clause 0x2
	flat_load_b128 v[50:53], v[16:17] offset:68
	flat_load_b128 v[67:70], v[16:17] offset:88
	;; [unrolled: 1-line block ×3, first 2 shown]
	flat_load_b32 v65, v[8:9] offset:216
	flat_load_b32 v54, v[16:17] offset:20
	s_clause 0x7
	flat_load_b64 v[0:1], v[8:9] offset:160
	flat_load_b64 v[29:30], v[8:9] offset:120
	;; [unrolled: 1-line block ×8, first 2 shown]
	flat_load_b32 v55, v[10:11] offset:48
	flat_load_b32 v71, v[16:17] offset:36
	s_clause 0x3
	flat_load_b64 v[34:35], v[8:9] offset:52
	flat_load_b128 v[16:19], v[8:9] offset:36
	flat_load_b32 v66, v[8:9] offset:200
	flat_load_b128 v[25:28], v[8:9] offset:16
	flat_load_b32 v86, v[10:11] offset:8
	s_clause 0x1
	flat_load_b32 v87, v[8:9] offset:188
	flat_load_b32 v96, v[8:9] offset:256
	;; [unrolled: 1-line block ×3, first 2 shown]
	flat_load_b64 v[116:117], v[14:15] offset:72
	v_and_b32_e32 v31, 0x3ff, v31
	s_mov_b32 s10, 0
	s_mov_b32 s3, exec_lo
	s_waitcnt vmcnt(23) lgkmcnt(23)
	v_mul_hi_u32 v24, v53, s12
	s_delay_alu instid0(VALU_DEP_1) | instskip(SKIP_1) | instid1(VALU_DEP_1)
	v_add_nc_u32_e32 v24, s12, v24
	s_waitcnt vmcnt(22) lgkmcnt(22)
	v_lshrrev_b32_e32 v53, v70, v24
	s_waitcnt vmcnt(7) lgkmcnt(7)
	v_sub_nc_u32_e32 v16, v16, v18
	v_sub_nc_u32_e32 v19, v19, v35
	s_delay_alu instid0(VALU_DEP_3) | instskip(NEXT) | instid1(VALU_DEP_1)
	v_mul_hi_u32 v24, v53, v52
	v_add_nc_u32_e32 v24, v53, v24
	s_delay_alu instid0(VALU_DEP_1) | instskip(NEXT) | instid1(VALU_DEP_1)
	v_lshrrev_b32_e32 v70, v69, v24
	v_mul_hi_u32 v24, v70, v51
	s_delay_alu instid0(VALU_DEP_1) | instskip(NEXT) | instid1(VALU_DEP_1)
	v_add_nc_u32_e32 v24, v70, v24
	v_lshrrev_b32_e32 v52, v68, v24
	s_delay_alu instid0(VALU_DEP_1) | instskip(SKIP_1) | instid1(VALU_DEP_2)
	v_mul_hi_u32 v24, v52, v50
	v_mul_lo_u32 v50, v70, v82
	v_add_nc_u32_e32 v24, v52, v24
	s_delay_alu instid0(VALU_DEP_1) | instskip(NEXT) | instid1(VALU_DEP_1)
	v_lshrrev_b32_e32 v24, v67, v24
	v_mul_lo_u32 v51, v24, v80
	v_lshlrev_b32_e32 v24, 3, v31
	s_delay_alu instid0(VALU_DEP_1) | instskip(SKIP_1) | instid1(VALU_DEP_4)
	v_and_b32_e32 v113, 8, v24
	v_sub_nc_u32_e32 v24, v53, v50
	v_sub_nc_u32_e32 v67, v52, v51
	v_mul_lo_u32 v53, v53, v83
	s_delay_alu instid0(VALU_DEP_4) | instskip(SKIP_1) | instid1(VALU_DEP_3)
	v_mul_lo_u32 v80, v65, v113
	s_waitcnt vmcnt(5) lgkmcnt(5)
	v_mad_u64_u32 v[50:51], null, v67, v54, v[24:25]
	v_lshrrev_b32_e32 v54, 1, v31
	v_lshlrev_b32_e32 v51, 1, v31
	s_delay_alu instid0(VALU_DEP_4) | instskip(SKIP_2) | instid1(VALU_DEP_4)
	v_mul_hi_u32 v24, v80, v1
	v_cmp_lt_i32_e32 vcc_lo, v80, v66
	v_readfirstlane_b32 s8, v50
	v_and_b32_e32 v69, 0x1f8, v51
	v_and_b32_e32 v51, 0x1fc, v51
	s_delay_alu instid0(VALU_DEP_3) | instskip(SKIP_1) | instid1(VALU_DEP_3)
	v_lshl_or_b32 v194, s8, 7, v54
	v_add_nc_u32_e32 v24, v80, v24
	v_sub_nc_u32_e32 v51, v51, v69
	s_delay_alu instid0(VALU_DEP_3) | instskip(NEXT) | instid1(VALU_DEP_3)
	v_mul_hi_u32 v30, v30, v194
	v_lshrrev_b32_e32 v50, v5, v24
	s_delay_alu instid0(VALU_DEP_1) | instskip(NEXT) | instid1(VALU_DEP_3)
	v_mul_hi_u32 v24, v50, v0
	v_add_nc_u32_e32 v30, v194, v30
	s_delay_alu instid0(VALU_DEP_1) | instskip(NEXT) | instid1(VALU_DEP_3)
	v_lshrrev_b32_e32 v30, v33, v30
	v_add_nc_u32_e32 v24, v50, v24
	v_lshrrev_b32_e32 v33, 5, v31
	v_lshlrev_b32_e32 v31, 2, v31
	s_delay_alu instid0(VALU_DEP_4) | instskip(SKIP_3) | instid1(VALU_DEP_2)
	v_mul_hi_u32 v29, v30, v29
	v_mul_lo_u32 v68, v30, v85
	v_lshrrev_b32_e32 v67, v4, v24
	v_lshlrev_b32_e32 v24, 6, v33
	v_mul_lo_u32 v82, v67, v38
	v_add_nc_u32_e32 v29, v30, v29
	v_sub_nc_u32_e32 v68, v194, v68
	s_delay_alu instid0(VALU_DEP_4)
	v_sub_nc_u32_e32 v85, v69, v24
	v_lshl_add_u32 v69, v33, 3, v51
	v_mul_lo_u32 v33, v55, v113
	v_lshrrev_b32_e32 v32, v32, v29
	v_mul_lo_u32 v24, v68, v37
	v_and_or_b32 v68, v31, 4, v85
	v_mul_lo_u32 v31, v52, v81
	v_sub_nc_u32_e32 v37, v50, v82
	v_mul_lo_u32 v81, v32, v84
	v_sub_nc_u32_e32 v29, s12, v53
	v_mul_lo_u32 v50, v50, v39
	s_delay_alu instid0(VALU_DEP_4) | instskip(SKIP_4) | instid1(VALU_DEP_3)
	v_mad_u64_u32 v[51:52], null, v37, v36, v[24:25]
	v_mul_lo_u32 v24, v48, v67
	v_sub_nc_u32_e32 v52, v70, v31
	v_sub_nc_u32_e32 v70, v30, v81
	;; [unrolled: 1-line block ×3, first 2 shown]
	v_mad_u64_u32 v[30:31], null, v52, v71, v[29:30]
	v_sub_nc_u32_e32 v29, v51, v34
	s_delay_alu instid0(VALU_DEP_4) | instskip(SKIP_2) | instid1(VALU_DEP_4)
	v_mad_u64_u32 v[52:53], null, v70, v49, v[24:25]
	v_cmp_ge_i32_e64 s0, v51, v34
	v_cmp_gt_i32_e64 s1, v19, v51
	v_mul_lo_u32 v18, v29, v27
	v_readfirstlane_b32 s9, v30
	v_mul_lo_u32 v29, v32, v25
	v_sub_nc_u32_e32 v30, v52, v17
	s_and_b32 s2, s0, s1
	s_delay_alu instid0(VALU_DEP_3)
	v_lshl_or_b32 v193, s9, 7, v54
	v_cmp_ge_i32_e64 s0, v52, v17
	v_mad_u64_u32 v[24:25], null, v28, v35, v[18:19]
	v_mov_b32_e32 v25, 0x31004000
	v_mul_lo_u32 v18, v30, v26
	v_cmp_gt_i32_e64 s1, v16, v52
	s_waitcnt vmcnt(4) lgkmcnt(4)
	v_mad_u64_u32 v[49:50], null, v86, v193, v[33:34]
	s_and_b32 s2, vcc_lo, s2
	s_waitcnt vmcnt(3) lgkmcnt(3)
	v_cmp_lt_i32_e32 vcc_lo, v194, v87
	s_and_b32 s0, s0, s1
	v_add3_u32 v18, v24, v29, v18
	s_waitcnt vmcnt(2) lgkmcnt(2)
	v_lshlrev_b32_e32 v24, 2, v96
	s_and_b32 s0, s2, s0
	s_delay_alu instid0(SALU_CYCLE_1)
	s_and_b32 s0, vcc_lo, s0
	v_lshlrev_b32_e32 v50, 2, v18
.LBB7_1:                                ; =>This Inner Loop Header: Depth=1
	v_readfirstlane_b32 s4, v22
	v_readfirstlane_b32 s5, v23
	;; [unrolled: 1-line block ×4, first 2 shown]
	s_delay_alu instid0(VALU_DEP_3) | instskip(NEXT) | instid1(VALU_DEP_2)
	v_cmp_eq_u64_e64 s1, s[4:5], v[22:23]
	v_cmp_eq_u64_e64 s2, s[6:7], v[24:25]
	s_delay_alu instid0(VALU_DEP_1) | instskip(NEXT) | instid1(SALU_CYCLE_1)
	s_and_b32 s1, s1, s2
	s_and_saveexec_b32 s1, s1
	buffer_load_b128 v[29:32], v50, s[4:7], 0 offen
                                        ; implicit-def: $vgpr50
	s_xor_b32 exec_lo, exec_lo, s1
	s_cbranch_execnz .LBB7_1
; %bb.2:
	s_mov_b32 exec_lo, s3
	v_or_b32_e32 v50, 4, v113
	s_waitcnt vmcnt(0)
	v_cndmask_b32_e64 v31, 0, v31, s0
	v_cndmask_b32_e64 v30, 0, v30, s0
	s_delay_alu instid0(VALU_DEP_3) | instskip(NEXT) | instid1(VALU_DEP_1)
	v_mul_lo_u32 v197, v65, v50
	v_mul_hi_u32 v1, v1, v197
	v_cmp_lt_i32_e64 s5, v197, v66
	s_delay_alu instid0(VALU_DEP_2) | instskip(NEXT) | instid1(VALU_DEP_1)
	v_add_nc_u32_e32 v1, v197, v1
	v_lshrrev_b32_e32 v1, v5, v1
	s_delay_alu instid0(VALU_DEP_1) | instskip(NEXT) | instid1(VALU_DEP_1)
	v_mul_hi_u32 v0, v1, v0
	v_add_nc_u32_e32 v0, v1, v0
	s_delay_alu instid0(VALU_DEP_1) | instskip(SKIP_1) | instid1(VALU_DEP_2)
	v_lshrrev_b32_e32 v196, v4, v0
	v_mul_lo_u32 v4, v1, v39
	v_mul_lo_u32 v0, v196, v38
	v_sub_nc_u32_e32 v5, v196, v67
	s_delay_alu instid0(VALU_DEP_3) | instskip(NEXT) | instid1(VALU_DEP_2)
	v_sub_nc_u32_e32 v208, v197, v4
	v_mul_lo_u32 v5, v48, v5
	s_delay_alu instid0(VALU_DEP_4) | instskip(NEXT) | instid1(VALU_DEP_3)
	v_sub_nc_u32_e32 v198, v1, v0
	v_sub_nc_u32_e32 v4, v208, v35
	v_cndmask_b32_e64 v1, 0, v32, s0
	v_cndmask_b32_e64 v32, 0, v29, s0
	s_delay_alu instid0(VALU_DEP_4) | instskip(SKIP_1) | instid1(VALU_DEP_2)
	v_sub_nc_u32_e32 v0, v198, v37
	v_add_nc_u32_e32 v199, v52, v5
	v_mul_lo_u32 v36, v0, v36
	v_mul_lo_u32 v0, v5, v26
	;; [unrolled: 1-line block ×3, first 2 shown]
	s_delay_alu instid0(VALU_DEP_4) | instskip(SKIP_3) | instid1(VALU_DEP_3)
	v_cmp_le_i32_e64 s1, v17, v199
	v_cmp_gt_i32_e64 s4, v16, v199
	v_add_nc_u32_e32 v28, v36, v51
	v_mad_u64_u32 v[4:5], null, v36, v27, v[0:1]
	s_and_b32 s1, s1, s4
	s_delay_alu instid0(VALU_DEP_2) | instskip(SKIP_1) | instid1(VALU_DEP_3)
	v_cmp_le_i32_e64 s2, v34, v28
	v_cmp_gt_i32_e64 s3, v19, v28
	v_add3_u32 v0, v4, v26, v18
	s_delay_alu instid0(VALU_DEP_2) | instskip(SKIP_2) | instid1(VALU_DEP_1)
	s_and_b32 s0, s2, s3
	s_mov_b32 s2, exec_lo
	s_and_b32 s0, s5, s0
	v_lshlrev_b32_e32 v4, 2, v0
	s_and_b32 s0, s0, s1
	s_delay_alu instid0(SALU_CYCLE_1)
	s_and_b32 vcc_lo, vcc_lo, s0
.LBB7_3:                                ; =>This Inner Loop Header: Depth=1
	v_readfirstlane_b32 s4, v22
	v_readfirstlane_b32 s5, v23
	v_readfirstlane_b32 s6, v24
	v_readfirstlane_b32 s7, v25
	s_delay_alu instid0(VALU_DEP_3) | instskip(NEXT) | instid1(VALU_DEP_2)
	v_cmp_eq_u64_e64 s0, s[4:5], v[22:23]
	v_cmp_eq_u64_e64 s1, s[6:7], v[24:25]
	s_delay_alu instid0(VALU_DEP_1) | instskip(NEXT) | instid1(SALU_CYCLE_1)
	s_and_b32 s0, s0, s1
	s_and_saveexec_b32 s0, s0
	buffer_load_b128 v[16:19], v4, s[4:7], 0 offen
                                        ; implicit-def: $vgpr4
	s_xor_b32 exec_lo, exec_lo, s0
	s_cbranch_execnz .LBB7_3
; %bb.4:
	s_mov_b32 exec_lo, s2
	s_clause 0x1
	flat_load_b32 v27, v[10:11] offset:32
	flat_load_b32 v4, v[10:11] offset:20
	s_waitcnt vmcnt(2)
	v_dual_cndmask_b32 v34, 0, v19 :: v_dual_cndmask_b32 v35, 0, v18
	v_dual_cndmask_b32 v36, 0, v17 :: v_dual_cndmask_b32 v37, 0, v16
	v_lshlrev_b32_e32 v26, 2, v49
	s_mov_b32 s3, exec_lo
	v_mov_b32_e32 v5, 0x31004000
	s_waitcnt vmcnt(1) lgkmcnt(1)
	v_cmp_gt_i32_e64 s0, v27, v33
	s_waitcnt vmcnt(0) lgkmcnt(0)
	v_cmp_gt_i32_e32 vcc_lo, v4, v193
	v_lshlrev_b32_e32 v4, 2, v64
	s_delay_alu instid0(VALU_DEP_3)
	s_and_b32 s0, vcc_lo, s0
.LBB7_5:                                ; =>This Inner Loop Header: Depth=1
	v_readfirstlane_b32 s4, v2
	v_readfirstlane_b32 s5, v3
	s_delay_alu instid0(VALU_DEP_3) | instskip(SKIP_1) | instid1(VALU_DEP_3)
	v_readfirstlane_b32 s6, v4
	v_readfirstlane_b32 s7, v5
	v_cmp_eq_u64_e64 s1, s[4:5], v[2:3]
	s_delay_alu instid0(VALU_DEP_2) | instskip(NEXT) | instid1(VALU_DEP_1)
	v_cmp_eq_u64_e64 s2, s[6:7], v[4:5]
	s_and_b32 s1, s1, s2
	s_delay_alu instid0(SALU_CYCLE_1)
	s_and_saveexec_b32 s1, s1
	buffer_load_b128 v[16:19], v26, s[4:7], 0 offen
                                        ; implicit-def: $vgpr26
	s_xor_b32 exec_lo, exec_lo, s1
	s_cbranch_execnz .LBB7_5
; %bb.6:
	s_mov_b32 exec_lo, s3
	v_lshlrev_b32_e32 v26, 2, v55
	s_waitcnt vmcnt(0)
	v_cndmask_b32_e64 v38, 0, v18, s0
	v_cndmask_b32_e64 v48, 0, v17, s0
	s_mov_b32 s2, exec_lo
	v_add_nc_u32_e32 v29, v26, v33
	v_add_nc_u32_e32 v26, v49, v26
	v_cndmask_b32_e64 v33, 0, v19, s0
	v_cndmask_b32_e64 v49, 0, v16, s0
	s_delay_alu instid0(VALU_DEP_4) | instskip(NEXT) | instid1(VALU_DEP_4)
	v_cmp_gt_i32_e64 s1, v27, v29
	v_lshlrev_b32_e32 v27, 2, v26
	s_delay_alu instid0(VALU_DEP_2)
	s_and_b32 vcc_lo, vcc_lo, s1
.LBB7_7:                                ; =>This Inner Loop Header: Depth=1
	v_readfirstlane_b32 s4, v2
	v_readfirstlane_b32 s5, v3
	;; [unrolled: 1-line block ×4, first 2 shown]
	s_delay_alu instid0(VALU_DEP_3) | instskip(NEXT) | instid1(VALU_DEP_2)
	v_cmp_eq_u64_e64 s0, s[4:5], v[2:3]
	v_cmp_eq_u64_e64 s1, s[6:7], v[4:5]
	s_delay_alu instid0(VALU_DEP_1) | instskip(NEXT) | instid1(SALU_CYCLE_1)
	s_and_b32 s0, s0, s1
	s_and_saveexec_b32 s0, s0
	buffer_load_b128 v[16:19], v27, s[4:7], 0 offen
                                        ; implicit-def: $vgpr27
	s_xor_b32 exec_lo, exec_lo, s0
	s_cbranch_execnz .LBB7_7
; %bb.8:
	s_mov_b32 exec_lo, s2
	flat_load_b32 v128, v[8:9] offset:228
	v_dual_mov_b32 v132, 0 :: v_dual_lshlrev_b32 v117, 2, v54
	s_waitcnt vmcnt(1)
	v_dual_cndmask_b32 v19, 0, v19 :: v_dual_cndmask_b32 v18, 0, v18
	v_dual_mov_b32 v27, v197 :: v_dual_lshlrev_b32 v180, 2, v69
	s_delay_alu instid0(VALU_DEP_3)
	v_lshl_or_b32 v182, v113, 9, v117
	v_dual_mov_b32 v134, 0 :: v_dual_lshlrev_b32 v181, 2, v68
	v_dual_mov_b32 v135, 0 :: v_dual_mov_b32 v82, 0
	v_dual_mov_b32 v133, 0 :: v_dual_mov_b32 v80, 0
	;; [unrolled: 1-line block ×28, first 2 shown]
	v_mov_b32_e32 v101, 0
	v_mov_b32_e32 v115, 0
	;; [unrolled: 1-line block ×5, first 2 shown]
	ds_store_2addr_stride64_b32 v182, v32, v30 offset1:2
	ds_store_2addr_stride64_b32 v182, v31, v1 offset0:4 offset1:6
	ds_store_2addr_stride64_b32 v182, v37, v36 offset0:8 offset1:10
	;; [unrolled: 1-line block ×3, first 2 shown]
	v_or_b32_e32 v1, 0x4000, v182
	v_or_b32_e32 v183, 0x2000, v182
	;; [unrolled: 1-line block ×3, first 2 shown]
	v_dual_cndmask_b32 v17, 0, v17 :: v_dual_cndmask_b32 v16, 0, v16
	s_mov_b32 s11, 0
	ds_store_2addr_stride64_b32 v182, v49, v48 offset0:64 offset1:66
	ds_store_2addr_stride64_b32 v182, v38, v33 offset0:68 offset1:70
	;; [unrolled: 1-line block ×4, first 2 shown]
	s_waitcnt vmcnt(0) lgkmcnt(8)
	v_subrev_nc_u32_e32 v195, 32, v128
	v_mov_b32_e32 v128, 0
.LBB7_9:                                ; =>This Loop Header: Depth=1
                                        ;     Child Loop BB7_10 Depth 2
                                        ;     Child Loop BB7_12 Depth 2
	;; [unrolled: 1-line block ×8, first 2 shown]
	s_clause 0x3
	flat_load_b32 v212, v[8:9] offset:216
	flat_load_b64 v[35:36], v[8:9] offset:160
	flat_load_b64 v[33:34], v[8:9] offset:172
	;; [unrolled: 1-line block ×3, first 2 shown]
	flat_load_b32 v209, v[10:11] offset:48
	s_clause 0x6
	flat_load_b32 v215, v[8:9] offset:76
	flat_load_b32 v213, v[8:9] offset:92
	;; [unrolled: 1-line block ×3, first 2 shown]
	flat_load_b128 v[16:19], v[8:9] offset:36
	flat_load_b64 v[48:49], v[8:9] offset:52
	flat_load_b96 v[30:32], v[8:9] offset:20
	flat_load_b32 v211, v[8:9] offset:200
	s_waitcnt vmcnt(11) lgkmcnt(11)
	v_mul_lo_u32 v214, v212, 12
	s_waitcnt vmcnt(7) lgkmcnt(7)
	v_mul_lo_u32 v231, v209, 12
	s_waitcnt vmcnt(4) lgkmcnt(4)
	v_cmp_lt_i32_e32 vcc_lo, v194, v210
	s_delay_alu instid0(VALU_DEP_3)
	v_add_nc_u32_e32 v197, v214, v197
	s_waitcnt vmcnt(2) lgkmcnt(2)
	v_sub_nc_u32_e32 v19, v19, v49
	v_sub_nc_u32_e32 v16, v16, v18
	v_add_nc_u32_e32 v18, v214, v27
	v_add_nc_u32_e32 v210, v231, v29
	v_mul_hi_u32 v224, v197, v36
	v_add_nc_u32_e32 v214, v231, v26
	s_waitcnt vmcnt(0) lgkmcnt(0)
	v_cmp_lt_i32_e64 s4, v18, v211
	s_delay_alu instid0(VALU_DEP_3) | instskip(NEXT) | instid1(VALU_DEP_1)
	v_add_nc_u32_e32 v224, v197, v224
	v_lshrrev_b32_e32 v224, v34, v224
	s_delay_alu instid0(VALU_DEP_1) | instskip(SKIP_1) | instid1(VALU_DEP_2)
	v_mul_hi_u32 v225, v224, v35
	v_mul_lo_u32 v227, v224, v38
	v_add_nc_u32_e32 v225, v224, v225
	s_delay_alu instid0(VALU_DEP_1) | instskip(NEXT) | instid1(VALU_DEP_1)
	v_lshrrev_b32_e32 v225, v33, v225
	v_mul_lo_u32 v226, v225, v37
	v_sub_nc_u32_e32 v196, v225, v196
	s_delay_alu instid0(VALU_DEP_1) | instskip(NEXT) | instid1(VALU_DEP_3)
	v_mul_lo_u32 v196, v196, v215
	v_sub_nc_u32_e32 v226, v224, v226
	v_sub_nc_u32_e32 v224, v197, v227
	s_delay_alu instid0(VALU_DEP_2) | instskip(NEXT) | instid1(VALU_DEP_2)
	v_sub_nc_u32_e32 v198, v226, v198
	v_sub_nc_u32_e32 v208, v224, v208
	v_add_nc_u32_e32 v228, v196, v199
	s_delay_alu instid0(VALU_DEP_3) | instskip(NEXT) | instid1(VALU_DEP_3)
	v_mul_lo_u32 v198, v198, v213
	v_mad_u64_u32 v[229:230], null, v32, v208, v[0:1]
	v_mul_lo_u32 v0, v196, v30
	s_delay_alu instid0(VALU_DEP_4) | instskip(SKIP_3) | instid1(VALU_DEP_3)
	v_cmp_le_i32_e64 s0, v17, v228
	v_cmp_gt_i32_e64 s3, v16, v228
	v_add_nc_u32_e32 v227, v198, v28
	v_mul_lo_u32 v28, v198, v31
	s_and_b32 s0, s0, s3
	s_mov_b32 s3, exec_lo
	s_delay_alu instid0(VALU_DEP_2) | instskip(SKIP_1) | instid1(VALU_DEP_3)
	v_cmp_le_i32_e64 s1, v48, v227
	v_cmp_gt_i32_e64 s2, v19, v227
	v_add3_u32 v0, v229, v0, v28
	s_delay_alu instid0(VALU_DEP_2) | instskip(NEXT) | instid1(SALU_CYCLE_1)
	s_and_b32 s1, s1, s2
	s_and_b32 s1, s4, s1
	s_delay_alu instid0(VALU_DEP_1) | instskip(SKIP_1) | instid1(SALU_CYCLE_1)
	v_lshlrev_b32_e32 v49, 2, v0
	s_and_b32 s0, s1, s0
	s_and_b32 s0, vcc_lo, s0
.LBB7_10:                               ;   Parent Loop BB7_9 Depth=1
                                        ; =>  This Inner Loop Header: Depth=2
	v_readfirstlane_b32 s4, v22
	v_readfirstlane_b32 s5, v23
	;; [unrolled: 1-line block ×4, first 2 shown]
	s_delay_alu instid0(VALU_DEP_3) | instskip(NEXT) | instid1(VALU_DEP_2)
	v_cmp_eq_u64_e64 s1, s[4:5], v[22:23]
	v_cmp_eq_u64_e64 s2, s[6:7], v[24:25]
	s_delay_alu instid0(VALU_DEP_1) | instskip(NEXT) | instid1(SALU_CYCLE_1)
	s_and_b32 s1, s1, s2
	s_and_saveexec_b32 s1, s1
	buffer_load_b128 v[26:29], v49, s[4:7], 0 offen
                                        ; implicit-def: $vgpr49
	s_xor_b32 exec_lo, exec_lo, s1
	s_cbranch_execnz .LBB7_10
; %bb.11:                               ;   in Loop: Header=BB7_9 Depth=1
	s_mov_b32 exec_lo, s3
	v_lshlrev_b32_e32 v212, 2, v212
	s_waitcnt vmcnt(0)
	v_cndmask_b32_e64 v49, 0, v29, s0
	v_cndmask_b32_e64 v208, 0, v28, s0
	;; [unrolled: 1-line block ×3, first 2 shown]
	v_add_nc_u32_e32 v197, v212, v197
	s_delay_alu instid0(VALU_DEP_1) | instskip(NEXT) | instid1(VALU_DEP_1)
	v_mul_hi_u32 v36, v197, v36
	v_add_nc_u32_e32 v36, v197, v36
	s_delay_alu instid0(VALU_DEP_1) | instskip(NEXT) | instid1(VALU_DEP_1)
	v_lshrrev_b32_e32 v34, v34, v36
	v_mul_hi_u32 v35, v34, v35
	s_delay_alu instid0(VALU_DEP_1) | instskip(NEXT) | instid1(VALU_DEP_1)
	v_add_nc_u32_e32 v35, v34, v35
	v_lshrrev_b32_e32 v196, v33, v35
	v_mul_lo_u32 v35, v34, v38
	s_delay_alu instid0(VALU_DEP_2) | instskip(NEXT) | instid1(VALU_DEP_2)
	v_mul_lo_u32 v33, v196, v37
	v_sub_nc_u32_e32 v198, v197, v35
	s_delay_alu instid0(VALU_DEP_2) | instskip(SKIP_1) | instid1(VALU_DEP_3)
	v_sub_nc_u32_e32 v199, v34, v33
	v_sub_nc_u32_e32 v33, v196, v225
	;; [unrolled: 1-line block ×3, first 2 shown]
	s_delay_alu instid0(VALU_DEP_3) | instskip(NEXT) | instid1(VALU_DEP_3)
	v_sub_nc_u32_e32 v34, v199, v226
	v_mul_lo_u32 v35, v33, v215
	s_delay_alu instid0(VALU_DEP_2) | instskip(NEXT) | instid1(VALU_DEP_4)
	v_mul_lo_u32 v37, v34, v213
	v_mad_u64_u32 v[33:34], null, v32, v36, v[0:1]
	s_delay_alu instid0(VALU_DEP_3)
	v_mul_lo_u32 v0, v35, v30
	v_add_nc_u32_e32 v28, v35, v228
	v_cndmask_b32_e64 v30, 0, v27, s0
	v_add_nc_u32_e32 v27, v212, v18
	v_add_nc_u32_e32 v29, v37, v227
	v_mul_lo_u32 v31, v37, v31
	v_cmp_le_i32_e64 s1, v17, v28
	v_cmp_gt_i32_e64 s4, v16, v28
	v_cmp_lt_i32_e64 s5, v27, v211
	v_cmp_le_i32_e64 s2, v48, v29
	v_cmp_gt_i32_e64 s3, v19, v29
	s_delay_alu instid0(VALU_DEP_4) | instskip(SKIP_1) | instid1(VALU_DEP_2)
	s_and_b32 s1, s1, s4
	v_add3_u32 v0, v33, v0, v31
	s_and_b32 s0, s2, s3
	s_mov_b32 s2, exec_lo
	s_and_b32 s0, s5, s0
	s_delay_alu instid0(VALU_DEP_1) | instskip(SKIP_1) | instid1(SALU_CYCLE_1)
	v_lshlrev_b32_e32 v31, 2, v0
	s_and_b32 s0, s1, s0
	s_and_b32 s0, vcc_lo, s0
.LBB7_12:                               ;   Parent Loop BB7_9 Depth=1
                                        ; =>  This Inner Loop Header: Depth=2
	v_readfirstlane_b32 s4, v22
	v_readfirstlane_b32 s5, v23
	;; [unrolled: 1-line block ×4, first 2 shown]
	s_delay_alu instid0(VALU_DEP_3) | instskip(NEXT) | instid1(VALU_DEP_2)
	v_cmp_eq_u64_e32 vcc_lo, s[4:5], v[22:23]
	v_cmp_eq_u64_e64 s1, s[6:7], v[24:25]
	s_delay_alu instid0(VALU_DEP_1) | instskip(NEXT) | instid1(SALU_CYCLE_1)
	s_and_b32 s1, vcc_lo, s1
	s_and_saveexec_b32 s1, s1
	buffer_load_b128 v[16:19], v31, s[4:7], 0 offen
                                        ; implicit-def: $vgpr31
	s_xor_b32 exec_lo, exec_lo, s1
	s_cbranch_execnz .LBB7_12
; %bb.13:                               ;   in Loop: Header=BB7_9 Depth=1
	s_mov_b32 exec_lo, s2
	s_clause 0x1
	flat_load_b32 v32, v[10:11] offset:32
	flat_load_b32 v31, v[10:11] offset:20
	s_waitcnt vmcnt(2)
	v_cndmask_b32_e64 v48, 0, v19, s0
	v_cndmask_b32_e64 v211, 0, v18, s0
	;; [unrolled: 1-line block ×3, first 2 shown]
	v_lshlrev_b32_e32 v33, 2, v214
	s_mov_b32 s3, exec_lo
	s_waitcnt vmcnt(1) lgkmcnt(1)
	v_cmp_gt_i32_e64 s1, v32, v210
	s_waitcnt vmcnt(0) lgkmcnt(0)
	v_cmp_gt_i32_e32 vcc_lo, v31, v193
	v_cndmask_b32_e64 v31, 0, v16, s0
	s_delay_alu instid0(VALU_DEP_3)
	s_and_b32 s0, vcc_lo, s1
.LBB7_14:                               ;   Parent Loop BB7_9 Depth=1
                                        ; =>  This Inner Loop Header: Depth=2
	v_readfirstlane_b32 s4, v2
	v_readfirstlane_b32 s5, v3
	v_readfirstlane_b32 s6, v4
	v_readfirstlane_b32 s7, v5
	s_delay_alu instid0(VALU_DEP_3) | instskip(NEXT) | instid1(VALU_DEP_2)
	v_cmp_eq_u64_e64 s1, s[4:5], v[2:3]
	v_cmp_eq_u64_e64 s2, s[6:7], v[4:5]
	s_delay_alu instid0(VALU_DEP_1) | instskip(NEXT) | instid1(SALU_CYCLE_1)
	s_and_b32 s1, s1, s2
	s_and_saveexec_b32 s1, s1
	buffer_load_b128 v[16:19], v33, s[4:7], 0 offen
                                        ; implicit-def: $vgpr33
	s_xor_b32 exec_lo, exec_lo, s1
	s_cbranch_execnz .LBB7_14
; %bb.15:                               ;   in Loop: Header=BB7_9 Depth=1
	s_mov_b32 exec_lo, s3
	v_lshlrev_b32_e32 v33, 2, v209
	s_waitcnt vmcnt(0)
	v_cndmask_b32_e64 v213, 0, v19, s0
	v_cndmask_b32_e64 v215, 0, v17, s0
	;; [unrolled: 1-line block ×3, first 2 shown]
	s_mov_b32 s2, exec_lo
	v_add_nc_u32_e32 v210, v33, v210
	v_add_nc_u32_e32 v209, v33, v214
	v_cndmask_b32_e64 v214, 0, v18, s0
	s_delay_alu instid0(VALU_DEP_3) | instskip(NEXT) | instid1(VALU_DEP_3)
	v_cmp_gt_i32_e64 s1, v32, v210
	v_lshlrev_b32_e32 v32, 2, v209
	s_delay_alu instid0(VALU_DEP_2)
	s_and_b32 vcc_lo, vcc_lo, s1
.LBB7_16:                               ;   Parent Loop BB7_9 Depth=1
                                        ; =>  This Inner Loop Header: Depth=2
	v_readfirstlane_b32 s4, v2
	v_readfirstlane_b32 s5, v3
	;; [unrolled: 1-line block ×4, first 2 shown]
	s_delay_alu instid0(VALU_DEP_3) | instskip(NEXT) | instid1(VALU_DEP_2)
	v_cmp_eq_u64_e64 s0, s[4:5], v[2:3]
	v_cmp_eq_u64_e64 s1, s[6:7], v[4:5]
	s_delay_alu instid0(VALU_DEP_1) | instskip(NEXT) | instid1(SALU_CYCLE_1)
	s_and_b32 s0, s0, s1
	s_and_saveexec_b32 s0, s0
	buffer_load_b128 v[16:19], v32, s[4:7], 0 offen
                                        ; implicit-def: $vgpr32
	s_xor_b32 exec_lo, exec_lo, s0
	s_cbranch_execnz .LBB7_16
; %bb.17:                               ;   in Loop: Header=BB7_9 Depth=1
	s_mov_b32 exec_lo, s2
	s_waitcnt vmcnt(0) lgkmcnt(0)
	s_waitcnt_vscnt null, 0x0
	s_barrier
	ds_load_b128 v[32:35], v180
	ds_load_b128 v[225:228], v181 offset:16384
	ds_load_b128 v[240:243], v181 offset:16640
	;; [unrolled: 1-line block ×3, first 2 shown]
	v_dual_cndmask_b32 v17, 0, v17 :: v_dual_cndmask_b32 v16, 0, v16
	v_dual_cndmask_b32 v19, 0, v19 :: v_dual_cndmask_b32 v18, 0, v18
	s_waitcnt lgkmcnt(2)
	;;#ASMSTART
	
             v_fmac_f32 v178, v32, v225 
             
	;;#ASMEND
	;;#ASMSTART
	
             v_fmac_f32 v179, v32, v226 
             
	;;#ASMEND
	;; [unrolled: 5-line block ×16, first 2 shown]
	s_waitcnt lgkmcnt(1)
	;;#ASMSTART
	
             v_fmac_f32 v166, v32, v240 
             
	;;#ASMEND
	;;#ASMSTART
	
             v_fmac_f32 v167, v32, v241 
             
	;;#ASMEND
	;; [unrolled: 5-line block ×16, first 2 shown]
	ds_load_b128 v[32:35], v180 offset:512
	s_waitcnt lgkmcnt(1)
	;;#ASMSTART
	
             v_fmac_f32 v132, v244, v225 
             
	;;#ASMEND
	;;#ASMSTART
	
             v_fmac_f32 v135, v244, v226 
             
	;;#ASMEND
	;; [unrolled: 5-line block ×16, first 2 shown]
	ds_load_b128 v[225:228], v181 offset:16896
	;;#ASMSTART
	
             v_fmac_f32 v130, v244, v240 
             
	;;#ASMEND
	;;#ASMSTART
	
             v_fmac_f32 v131, v244, v241 
             
	;;#ASMEND
	;; [unrolled: 5-line block ×16, first 2 shown]
	ds_load_b128 v[240:243], v181 offset:17152
	ds_load_b128 v[244:247], v180 offset:768
	s_waitcnt lgkmcnt(2)
	;;#ASMSTART
	
             v_fmac_f32 v178, v32, v225 
             
	;;#ASMEND
	;;#ASMSTART
	
             v_fmac_f32 v179, v32, v226 
             
	;;#ASMEND
	;; [unrolled: 5-line block ×16, first 2 shown]
	s_waitcnt lgkmcnt(1)
	;;#ASMSTART
	
             v_fmac_f32 v166, v32, v240 
             
	;;#ASMEND
	;;#ASMSTART
	
             v_fmac_f32 v167, v32, v241 
             
	;;#ASMEND
	;; [unrolled: 5-line block ×16, first 2 shown]
	ds_load_b128 v[32:35], v180 offset:1024
	s_waitcnt lgkmcnt(1)
	;;#ASMSTART
	
             v_fmac_f32 v132, v244, v225 
             
	;;#ASMEND
	;;#ASMSTART
	
             v_fmac_f32 v135, v244, v226 
             
	;;#ASMEND
	;; [unrolled: 5-line block ×16, first 2 shown]
	ds_load_b128 v[225:228], v181 offset:17408
	;;#ASMSTART
	
             v_fmac_f32 v130, v244, v240 
             
	;;#ASMEND
	;;#ASMSTART
	
             v_fmac_f32 v131, v244, v241 
             
	;;#ASMEND
	;; [unrolled: 5-line block ×16, first 2 shown]
	ds_load_b128 v[240:243], v181 offset:17664
	ds_load_b128 v[244:247], v180 offset:1280
	s_waitcnt lgkmcnt(2)
	;;#ASMSTART
	
             v_fmac_f32 v178, v32, v225 
             
	;;#ASMEND
	;;#ASMSTART
	
             v_fmac_f32 v179, v32, v226 
             
	;;#ASMEND
	;; [unrolled: 5-line block ×16, first 2 shown]
	s_waitcnt lgkmcnt(1)
	;;#ASMSTART
	
             v_fmac_f32 v166, v32, v240 
             
	;;#ASMEND
	;;#ASMSTART
	
             v_fmac_f32 v167, v32, v241 
             
	;;#ASMEND
	;; [unrolled: 5-line block ×16, first 2 shown]
	ds_load_b128 v[32:35], v180 offset:1536
	s_waitcnt lgkmcnt(1)
	;;#ASMSTART
	
             v_fmac_f32 v132, v244, v225 
             
	;;#ASMEND
	;;#ASMSTART
	
             v_fmac_f32 v135, v244, v226 
             
	;;#ASMEND
	;; [unrolled: 5-line block ×16, first 2 shown]
	ds_load_b128 v[225:228], v181 offset:17920
	;;#ASMSTART
	
             v_fmac_f32 v130, v244, v240 
             
	;;#ASMEND
	;;#ASMSTART
	
             v_fmac_f32 v131, v244, v241 
             
	;;#ASMEND
	;; [unrolled: 5-line block ×16, first 2 shown]
	ds_load_b128 v[240:243], v181 offset:18176
	ds_load_b128 v[244:247], v180 offset:1792
	s_waitcnt lgkmcnt(2)
	;;#ASMSTART
	
             v_fmac_f32 v178, v32, v225 
             
	;;#ASMEND
	;;#ASMSTART
	
             v_fmac_f32 v179, v32, v226 
             
	;;#ASMEND
	;; [unrolled: 5-line block ×16, first 2 shown]
	s_waitcnt lgkmcnt(1)
	;;#ASMSTART
	
             v_fmac_f32 v166, v32, v240 
             
	;;#ASMEND
	;;#ASMSTART
	
             v_fmac_f32 v167, v32, v241 
             
	;;#ASMEND
	;; [unrolled: 5-line block ×16, first 2 shown]
	ds_load_b128 v[32:35], v180 offset:2048
	s_waitcnt lgkmcnt(1)
	;;#ASMSTART
	
             v_fmac_f32 v132, v244, v225 
             
	;;#ASMEND
	;;#ASMSTART
	
             v_fmac_f32 v135, v244, v226 
             
	;;#ASMEND
	;; [unrolled: 5-line block ×16, first 2 shown]
	ds_load_b128 v[225:228], v181 offset:18432
	;;#ASMSTART
	
             v_fmac_f32 v130, v244, v240 
             
	;;#ASMEND
	;;#ASMSTART
	
             v_fmac_f32 v131, v244, v241 
             
	;;#ASMEND
	;; [unrolled: 5-line block ×16, first 2 shown]
	ds_load_b128 v[240:243], v181 offset:18688
	ds_load_b128 v[244:247], v180 offset:2304
	s_waitcnt lgkmcnt(2)
	;;#ASMSTART
	
             v_fmac_f32 v178, v32, v225 
             
	;;#ASMEND
	;;#ASMSTART
	
             v_fmac_f32 v179, v32, v226 
             
	;;#ASMEND
	;; [unrolled: 5-line block ×16, first 2 shown]
	s_waitcnt lgkmcnt(1)
	;;#ASMSTART
	
             v_fmac_f32 v166, v32, v240 
             
	;;#ASMEND
	;;#ASMSTART
	
             v_fmac_f32 v167, v32, v241 
             
	;;#ASMEND
	;; [unrolled: 5-line block ×16, first 2 shown]
	ds_load_b128 v[32:35], v180 offset:2560
	s_waitcnt lgkmcnt(1)
	;;#ASMSTART
	
             v_fmac_f32 v132, v244, v225 
             
	;;#ASMEND
	;;#ASMSTART
	
             v_fmac_f32 v135, v244, v226 
             
	;;#ASMEND
	;; [unrolled: 5-line block ×16, first 2 shown]
	ds_load_b128 v[225:228], v181 offset:18944
	;;#ASMSTART
	
             v_fmac_f32 v130, v244, v240 
             
	;;#ASMEND
	;;#ASMSTART
	
             v_fmac_f32 v131, v244, v241 
             
	;;#ASMEND
	;; [unrolled: 5-line block ×16, first 2 shown]
	ds_load_b128 v[240:243], v181 offset:19200
	ds_load_b128 v[244:247], v180 offset:2816
	s_waitcnt lgkmcnt(2)
	;;#ASMSTART
	
             v_fmac_f32 v178, v32, v225 
             
	;;#ASMEND
	;;#ASMSTART
	
             v_fmac_f32 v179, v32, v226 
             
	;;#ASMEND
	;; [unrolled: 5-line block ×16, first 2 shown]
	s_waitcnt lgkmcnt(1)
	;;#ASMSTART
	
             v_fmac_f32 v166, v32, v240 
             
	;;#ASMEND
	;;#ASMSTART
	
             v_fmac_f32 v167, v32, v241 
             
	;;#ASMEND
	;; [unrolled: 5-line block ×16, first 2 shown]
	ds_load_b128 v[32:35], v180 offset:3072
	s_waitcnt lgkmcnt(1)
	;;#ASMSTART
	
             v_fmac_f32 v132, v244, v225 
             
	;;#ASMEND
	;;#ASMSTART
	
             v_fmac_f32 v135, v244, v226 
             
	;;#ASMEND
	;; [unrolled: 5-line block ×16, first 2 shown]
	ds_load_b128 v[225:228], v181 offset:19456
	;;#ASMSTART
	
             v_fmac_f32 v130, v244, v240 
             
	;;#ASMEND
	;;#ASMSTART
	
             v_fmac_f32 v131, v244, v241 
             
	;;#ASMEND
	;; [unrolled: 5-line block ×16, first 2 shown]
	ds_load_b128 v[240:243], v181 offset:19712
	ds_load_b128 v[244:247], v180 offset:3328
	s_waitcnt lgkmcnt(2)
	;;#ASMSTART
	
             v_fmac_f32 v178, v32, v225 
             
	;;#ASMEND
	;;#ASMSTART
	
             v_fmac_f32 v179, v32, v226 
             
	;;#ASMEND
	;;#ASMSTART
	
             v_fmac_f32 v176, v32, v227 
             
	;;#ASMEND
	;;#ASMSTART
	
             v_fmac_f32 v177, v32, v228 
             
	;;#ASMEND
	;;#ASMSTART
	
             v_fmac_f32 v163, v33, v225 
             
	;;#ASMEND
	;;#ASMSTART
	
             v_fmac_f32 v162, v33, v226 
             
	;;#ASMEND
	;;#ASMSTART
	
             v_fmac_f32 v161, v33, v227 
             
	;;#ASMEND
	;;#ASMSTART
	
             v_fmac_f32 v160, v33, v228 
             
	;;#ASMEND
	;;#ASMSTART
	
             v_fmac_f32 v149, v34, v225 
             
	;;#ASMEND
	;;#ASMSTART
	
             v_fmac_f32 v148, v34, v226 
             
	;;#ASMEND
	;;#ASMSTART
	
             v_fmac_f32 v51, v34, v227 
             
	;;#ASMEND
	;;#ASMSTART
	
             v_fmac_f32 v50, v34, v228 
             
	;;#ASMEND
	;;#ASMSTART
	
             v_fmac_f32 v147, v35, v225 
             
	;;#ASMEND
	;;#ASMSTART
	
             v_fmac_f32 v146, v35, v226 
             
	;;#ASMEND
	;;#ASMSTART
	
             v_fmac_f32 v145, v35, v227 
             
	;;#ASMEND
	;;#ASMSTART
	
             v_fmac_f32 v144, v35, v228 
             
	;;#ASMEND
	s_waitcnt lgkmcnt(1)
	;;#ASMSTART
	
             v_fmac_f32 v166, v32, v240 
             
	;;#ASMEND
	;;#ASMSTART
	
             v_fmac_f32 v167, v32, v241 
             
	;;#ASMEND
	;; [unrolled: 5-line block ×16, first 2 shown]
	ds_load_b128 v[32:35], v180 offset:3584
	s_waitcnt lgkmcnt(1)
	;;#ASMSTART
	
             v_fmac_f32 v132, v244, v225 
             
	;;#ASMEND
	;;#ASMSTART
	
             v_fmac_f32 v135, v244, v226 
             
	;;#ASMEND
	;; [unrolled: 5-line block ×16, first 2 shown]
	ds_load_b128 v[225:228], v181 offset:19968
	;;#ASMSTART
	
             v_fmac_f32 v130, v244, v240 
             
	;;#ASMEND
	;;#ASMSTART
	
             v_fmac_f32 v131, v244, v241 
             
	;;#ASMEND
	;; [unrolled: 5-line block ×16, first 2 shown]
	ds_load_b128 v[240:243], v181 offset:20224
	ds_load_b128 v[244:247], v180 offset:3840
	s_waitcnt lgkmcnt(2)
	;;#ASMSTART
	
             v_fmac_f32 v178, v32, v225 
             
	;;#ASMEND
	;;#ASMSTART
	
             v_fmac_f32 v179, v32, v226 
             
	;;#ASMEND
	;;#ASMSTART
	
             v_fmac_f32 v176, v32, v227 
             
	;;#ASMEND
	;;#ASMSTART
	
             v_fmac_f32 v177, v32, v228 
             
	;;#ASMEND
	;;#ASMSTART
	
             v_fmac_f32 v163, v33, v225 
             
	;;#ASMEND
	;;#ASMSTART
	
             v_fmac_f32 v162, v33, v226 
             
	;;#ASMEND
	;;#ASMSTART
	
             v_fmac_f32 v161, v33, v227 
             
	;;#ASMEND
	;;#ASMSTART
	
             v_fmac_f32 v160, v33, v228 
             
	;;#ASMEND
	;;#ASMSTART
	
             v_fmac_f32 v149, v34, v225 
             
	;;#ASMEND
	;;#ASMSTART
	
             v_fmac_f32 v148, v34, v226 
             
	;;#ASMEND
	;;#ASMSTART
	
             v_fmac_f32 v51, v34, v227 
             
	;;#ASMEND
	;;#ASMSTART
	
             v_fmac_f32 v50, v34, v228 
             
	;;#ASMEND
	;;#ASMSTART
	
             v_fmac_f32 v147, v35, v225 
             
	;;#ASMEND
	;;#ASMSTART
	
             v_fmac_f32 v146, v35, v226 
             
	;;#ASMEND
	;;#ASMSTART
	
             v_fmac_f32 v145, v35, v227 
             
	;;#ASMEND
	;;#ASMSTART
	
             v_fmac_f32 v144, v35, v228 
             
	;;#ASMEND
	s_waitcnt lgkmcnt(1)
	;;#ASMSTART
	
             v_fmac_f32 v166, v32, v240 
             
	;;#ASMEND
	;;#ASMSTART
	
             v_fmac_f32 v167, v32, v241 
             
	;;#ASMEND
	;; [unrolled: 5-line block ×16, first 2 shown]
	ds_load_b128 v[32:35], v180 offset:4096
	s_waitcnt lgkmcnt(1)
	;;#ASMSTART
	
             v_fmac_f32 v132, v244, v225 
             
	;;#ASMEND
	;;#ASMSTART
	
             v_fmac_f32 v135, v244, v226 
             
	;;#ASMEND
	;; [unrolled: 5-line block ×16, first 2 shown]
	ds_load_b128 v[225:228], v181 offset:20480
	;;#ASMSTART
	
             v_fmac_f32 v130, v244, v240 
             
	;;#ASMEND
	;;#ASMSTART
	
             v_fmac_f32 v131, v244, v241 
             
	;;#ASMEND
	;; [unrolled: 5-line block ×16, first 2 shown]
	ds_load_b128 v[240:243], v181 offset:20736
	ds_load_b128 v[244:247], v180 offset:4352
	s_waitcnt lgkmcnt(2)
	;;#ASMSTART
	
             v_fmac_f32 v178, v32, v225 
             
	;;#ASMEND
	;;#ASMSTART
	
             v_fmac_f32 v179, v32, v226 
             
	;;#ASMEND
	;; [unrolled: 5-line block ×16, first 2 shown]
	s_waitcnt lgkmcnt(1)
	;;#ASMSTART
	
             v_fmac_f32 v166, v32, v240 
             
	;;#ASMEND
	;;#ASMSTART
	
             v_fmac_f32 v167, v32, v241 
             
	;;#ASMEND
	;; [unrolled: 5-line block ×16, first 2 shown]
	ds_load_b128 v[32:35], v180 offset:4608
	s_waitcnt lgkmcnt(1)
	;;#ASMSTART
	
             v_fmac_f32 v132, v244, v225 
             
	;;#ASMEND
	;;#ASMSTART
	
             v_fmac_f32 v135, v244, v226 
             
	;;#ASMEND
	;; [unrolled: 5-line block ×16, first 2 shown]
	ds_load_b128 v[225:228], v181 offset:20992
	;;#ASMSTART
	
             v_fmac_f32 v130, v244, v240 
             
	;;#ASMEND
	;;#ASMSTART
	
             v_fmac_f32 v131, v244, v241 
             
	;;#ASMEND
	;; [unrolled: 5-line block ×16, first 2 shown]
	ds_load_b128 v[240:243], v181 offset:21248
	ds_load_b128 v[244:247], v180 offset:4864
	s_waitcnt lgkmcnt(2)
	;;#ASMSTART
	
             v_fmac_f32 v178, v32, v225 
             
	;;#ASMEND
	;;#ASMSTART
	
             v_fmac_f32 v179, v32, v226 
             
	;;#ASMEND
	;; [unrolled: 5-line block ×16, first 2 shown]
	s_waitcnt lgkmcnt(1)
	;;#ASMSTART
	
             v_fmac_f32 v166, v32, v240 
             
	;;#ASMEND
	;;#ASMSTART
	
             v_fmac_f32 v167, v32, v241 
             
	;;#ASMEND
	;; [unrolled: 5-line block ×16, first 2 shown]
	ds_load_b128 v[32:35], v180 offset:5120
	s_waitcnt lgkmcnt(1)
	;;#ASMSTART
	
             v_fmac_f32 v132, v244, v225 
             
	;;#ASMEND
	;;#ASMSTART
	
             v_fmac_f32 v135, v244, v226 
             
	;;#ASMEND
	;; [unrolled: 5-line block ×16, first 2 shown]
	ds_load_b128 v[225:228], v181 offset:21504
	;;#ASMSTART
	
             v_fmac_f32 v130, v244, v240 
             
	;;#ASMEND
	;;#ASMSTART
	
             v_fmac_f32 v131, v244, v241 
             
	;;#ASMEND
	;; [unrolled: 5-line block ×16, first 2 shown]
	ds_load_b128 v[240:243], v181 offset:21760
	ds_load_b128 v[244:247], v180 offset:5376
	s_waitcnt lgkmcnt(2)
	;;#ASMSTART
	
             v_fmac_f32 v178, v32, v225 
             
	;;#ASMEND
	;;#ASMSTART
	
             v_fmac_f32 v179, v32, v226 
             
	;;#ASMEND
	;;#ASMSTART
	
             v_fmac_f32 v176, v32, v227 
             
	;;#ASMEND
	;;#ASMSTART
	
             v_fmac_f32 v177, v32, v228 
             
	;;#ASMEND
	;;#ASMSTART
	
             v_fmac_f32 v163, v33, v225 
             
	;;#ASMEND
	;;#ASMSTART
	
             v_fmac_f32 v162, v33, v226 
             
	;;#ASMEND
	;;#ASMSTART
	
             v_fmac_f32 v161, v33, v227 
             
	;;#ASMEND
	;;#ASMSTART
	
             v_fmac_f32 v160, v33, v228 
             
	;;#ASMEND
	;;#ASMSTART
	
             v_fmac_f32 v149, v34, v225 
             
	;;#ASMEND
	;;#ASMSTART
	
             v_fmac_f32 v148, v34, v226 
             
	;;#ASMEND
	;;#ASMSTART
	
             v_fmac_f32 v51, v34, v227 
             
	;;#ASMEND
	;;#ASMSTART
	
             v_fmac_f32 v50, v34, v228 
             
	;;#ASMEND
	;;#ASMSTART
	
             v_fmac_f32 v147, v35, v225 
             
	;;#ASMEND
	;;#ASMSTART
	
             v_fmac_f32 v146, v35, v226 
             
	;;#ASMEND
	;;#ASMSTART
	
             v_fmac_f32 v145, v35, v227 
             
	;;#ASMEND
	;;#ASMSTART
	
             v_fmac_f32 v144, v35, v228 
             
	;;#ASMEND
	s_waitcnt lgkmcnt(1)
	;;#ASMSTART
	
             v_fmac_f32 v166, v32, v240 
             
	;;#ASMEND
	;;#ASMSTART
	
             v_fmac_f32 v167, v32, v241 
             
	;;#ASMEND
	;; [unrolled: 5-line block ×16, first 2 shown]
	ds_load_b128 v[32:35], v180 offset:5632
	s_waitcnt lgkmcnt(1)
	;;#ASMSTART
	
             v_fmac_f32 v132, v244, v225 
             
	;;#ASMEND
	;;#ASMSTART
	
             v_fmac_f32 v135, v244, v226 
             
	;;#ASMEND
	;; [unrolled: 5-line block ×16, first 2 shown]
	ds_load_b128 v[225:228], v181 offset:22016
	;;#ASMSTART
	
             v_fmac_f32 v130, v244, v240 
             
	;;#ASMEND
	;;#ASMSTART
	
             v_fmac_f32 v131, v244, v241 
             
	;;#ASMEND
	;; [unrolled: 5-line block ×16, first 2 shown]
	ds_load_b128 v[240:243], v181 offset:22272
	ds_load_b128 v[244:247], v180 offset:5888
	s_waitcnt lgkmcnt(2)
	;;#ASMSTART
	
             v_fmac_f32 v178, v32, v225 
             
	;;#ASMEND
	;;#ASMSTART
	
             v_fmac_f32 v179, v32, v226 
             
	;;#ASMEND
	;; [unrolled: 5-line block ×16, first 2 shown]
	s_waitcnt lgkmcnt(1)
	;;#ASMSTART
	
             v_fmac_f32 v166, v32, v240 
             
	;;#ASMEND
	;;#ASMSTART
	
             v_fmac_f32 v167, v32, v241 
             
	;;#ASMEND
	;; [unrolled: 5-line block ×16, first 2 shown]
	ds_load_b128 v[32:35], v180 offset:6144
	s_waitcnt lgkmcnt(1)
	;;#ASMSTART
	
             v_fmac_f32 v132, v244, v225 
             
	;;#ASMEND
	;;#ASMSTART
	
             v_fmac_f32 v135, v244, v226 
             
	;;#ASMEND
	;; [unrolled: 5-line block ×16, first 2 shown]
	ds_load_b128 v[225:228], v181 offset:22528
	;;#ASMSTART
	
             v_fmac_f32 v130, v244, v240 
             
	;;#ASMEND
	;;#ASMSTART
	
             v_fmac_f32 v131, v244, v241 
             
	;;#ASMEND
	;;#ASMSTART
	
             v_fmac_f32 v39, v244, v242 
             
	;;#ASMEND
	;;#ASMSTART
	
             v_fmac_f32 v129, v244, v243 
             
	;;#ASMEND
	;;#ASMSTART
	
             v_fmac_f32 v86, v245, v240 
             
	;;#ASMEND
	;;#ASMSTART
	
             v_fmac_f32 v87, v245, v241 
             
	;;#ASMEND
	;;#ASMSTART
	
             v_fmac_f32 v84, v245, v242 
             
	;;#ASMEND
	;;#ASMSTART
	
             v_fmac_f32 v85, v245, v243 
             
	;;#ASMEND
	;;#ASMSTART
	
             v_fmac_f32 v102, v246, v240 
             
	;;#ASMEND
	;;#ASMSTART
	
             v_fmac_f32 v103, v246, v241 
             
	;;#ASMEND
	;;#ASMSTART
	
             v_fmac_f32 v100, v246, v242 
             
	;;#ASMEND
	;;#ASMSTART
	
             v_fmac_f32 v101, v246, v243 
             
	;;#ASMEND
	;;#ASMSTART
	
             v_fmac_f32 v119, v247, v240 
             
	;;#ASMEND
	;;#ASMSTART
	
             v_fmac_f32 v117, v247, v241 
             
	;;#ASMEND
	;;#ASMSTART
	
             v_fmac_f32 v118, v247, v242 
             
	;;#ASMEND
	;;#ASMSTART
	
             v_fmac_f32 v128, v247, v243 
             
	;;#ASMEND
	ds_load_b128 v[240:243], v181 offset:22784
	ds_load_b128 v[244:247], v180 offset:6400
	s_waitcnt lgkmcnt(2)
	;;#ASMSTART
	
             v_fmac_f32 v178, v32, v225 
             
	;;#ASMEND
	;;#ASMSTART
	
             v_fmac_f32 v179, v32, v226 
             
	;;#ASMEND
	;; [unrolled: 5-line block ×16, first 2 shown]
	s_waitcnt lgkmcnt(1)
	;;#ASMSTART
	
             v_fmac_f32 v166, v32, v240 
             
	;;#ASMEND
	;;#ASMSTART
	
             v_fmac_f32 v167, v32, v241 
             
	;;#ASMEND
	;;#ASMSTART
	
             v_fmac_f32 v164, v32, v242 
             
	;;#ASMEND
	;;#ASMSTART
	
             v_fmac_f32 v165, v32, v243 
             
	;;#ASMEND
	;;#ASMSTART
	
             v_fmac_f32 v150, v33, v240 
             
	;;#ASMEND
	;;#ASMSTART
	
             v_fmac_f32 v151, v33, v241 
             
	;;#ASMEND
	;;#ASMSTART
	
             v_fmac_f32 v70, v33, v242 
             
	;;#ASMEND
	;;#ASMSTART
	
             v_fmac_f32 v71, v33, v243 
             
	;;#ASMEND
	;;#ASMSTART
	
             v_fmac_f32 v66, v34, v240 
             
	;;#ASMEND
	;;#ASMSTART
	
             v_fmac_f32 v67, v34, v241 
             
	;;#ASMEND
	;;#ASMSTART
	
             v_fmac_f32 v64, v34, v242 
             
	;;#ASMEND
	;;#ASMSTART
	
             v_fmac_f32 v65, v34, v243 
             
	;;#ASMEND
	;;#ASMSTART
	
             v_fmac_f32 v83, v35, v240 
             
	;;#ASMEND
	;;#ASMSTART
	
             v_fmac_f32 v82, v35, v241 
             
	;;#ASMEND
	;;#ASMSTART
	
             v_fmac_f32 v80, v35, v242 
             
	;;#ASMEND
	;;#ASMSTART
	
             v_fmac_f32 v81, v35, v243 
             
	;;#ASMEND
	ds_load_b128 v[32:35], v180 offset:6656
	s_waitcnt lgkmcnt(1)
	;;#ASMSTART
	
             v_fmac_f32 v132, v244, v225 
             
	;;#ASMEND
	;;#ASMSTART
	
             v_fmac_f32 v135, v244, v226 
             
	;;#ASMEND
	;; [unrolled: 5-line block ×16, first 2 shown]
	ds_load_b128 v[225:228], v181 offset:23040
	;;#ASMSTART
	
             v_fmac_f32 v130, v244, v240 
             
	;;#ASMEND
	;;#ASMSTART
	
             v_fmac_f32 v131, v244, v241 
             
	;;#ASMEND
	;; [unrolled: 5-line block ×16, first 2 shown]
	ds_load_b128 v[240:243], v181 offset:23296
	ds_load_b128 v[244:247], v180 offset:6912
	s_waitcnt lgkmcnt(2)
	;;#ASMSTART
	
             v_fmac_f32 v178, v32, v225 
             
	;;#ASMEND
	;;#ASMSTART
	
             v_fmac_f32 v179, v32, v226 
             
	;;#ASMEND
	;;#ASMSTART
	
             v_fmac_f32 v176, v32, v227 
             
	;;#ASMEND
	;;#ASMSTART
	
             v_fmac_f32 v177, v32, v228 
             
	;;#ASMEND
	;;#ASMSTART
	
             v_fmac_f32 v163, v33, v225 
             
	;;#ASMEND
	;;#ASMSTART
	
             v_fmac_f32 v162, v33, v226 
             
	;;#ASMEND
	;;#ASMSTART
	
             v_fmac_f32 v161, v33, v227 
             
	;;#ASMEND
	;;#ASMSTART
	
             v_fmac_f32 v160, v33, v228 
             
	;;#ASMEND
	;;#ASMSTART
	
             v_fmac_f32 v149, v34, v225 
             
	;;#ASMEND
	;;#ASMSTART
	
             v_fmac_f32 v148, v34, v226 
             
	;;#ASMEND
	;;#ASMSTART
	
             v_fmac_f32 v51, v34, v227 
             
	;;#ASMEND
	;;#ASMSTART
	
             v_fmac_f32 v50, v34, v228 
             
	;;#ASMEND
	;;#ASMSTART
	
             v_fmac_f32 v147, v35, v225 
             
	;;#ASMEND
	;;#ASMSTART
	
             v_fmac_f32 v146, v35, v226 
             
	;;#ASMEND
	;;#ASMSTART
	
             v_fmac_f32 v145, v35, v227 
             
	;;#ASMEND
	;;#ASMSTART
	
             v_fmac_f32 v144, v35, v228 
             
	;;#ASMEND
	s_waitcnt lgkmcnt(1)
	;;#ASMSTART
	
             v_fmac_f32 v166, v32, v240 
             
	;;#ASMEND
	;;#ASMSTART
	
             v_fmac_f32 v167, v32, v241 
             
	;;#ASMEND
	;; [unrolled: 5-line block ×16, first 2 shown]
	ds_load_b128 v[32:35], v180 offset:7168
	s_waitcnt lgkmcnt(1)
	;;#ASMSTART
	
             v_fmac_f32 v132, v244, v225 
             
	;;#ASMEND
	;;#ASMSTART
	
             v_fmac_f32 v135, v244, v226 
             
	;;#ASMEND
	;; [unrolled: 5-line block ×16, first 2 shown]
	ds_load_b128 v[225:228], v181 offset:23552
	;;#ASMSTART
	
             v_fmac_f32 v130, v244, v240 
             
	;;#ASMEND
	;;#ASMSTART
	
             v_fmac_f32 v131, v244, v241 
             
	;;#ASMEND
	;; [unrolled: 5-line block ×16, first 2 shown]
	ds_load_b128 v[240:243], v181 offset:23808
	ds_load_b128 v[244:247], v180 offset:7424
	s_waitcnt lgkmcnt(2)
	;;#ASMSTART
	
             v_fmac_f32 v178, v32, v225 
             
	;;#ASMEND
	;;#ASMSTART
	
             v_fmac_f32 v179, v32, v226 
             
	;;#ASMEND
	;; [unrolled: 5-line block ×16, first 2 shown]
	s_waitcnt lgkmcnt(1)
	;;#ASMSTART
	
             v_fmac_f32 v166, v32, v240 
             
	;;#ASMEND
	;;#ASMSTART
	
             v_fmac_f32 v167, v32, v241 
             
	;;#ASMEND
	;; [unrolled: 5-line block ×16, first 2 shown]
	ds_load_b128 v[32:35], v180 offset:7680
	s_waitcnt lgkmcnt(1)
	;;#ASMSTART
	
             v_fmac_f32 v132, v244, v225 
             
	;;#ASMEND
	;;#ASMSTART
	
             v_fmac_f32 v135, v244, v226 
             
	;;#ASMEND
	;;#ASMSTART
	
             v_fmac_f32 v134, v244, v227 
             
	;;#ASMEND
	;;#ASMSTART
	
             v_fmac_f32 v133, v244, v228 
             
	;;#ASMEND
	;;#ASMSTART
	
             v_fmac_f32 v55, v245, v225 
             
	;;#ASMEND
	;;#ASMSTART
	
             v_fmac_f32 v54, v245, v226 
             
	;;#ASMEND
	;;#ASMSTART
	
             v_fmac_f32 v53, v245, v227 
             
	;;#ASMEND
	;;#ASMSTART
	
             v_fmac_f32 v52, v245, v228 
             
	;;#ASMEND
	;;#ASMSTART
	
             v_fmac_f32 v99, v246, v225 
             
	;;#ASMEND
	;;#ASMSTART
	
             v_fmac_f32 v98, v246, v226 
             
	;;#ASMEND
	;;#ASMSTART
	
             v_fmac_f32 v97, v246, v227 
             
	;;#ASMEND
	;;#ASMSTART
	
             v_fmac_f32 v96, v246, v228 
             
	;;#ASMEND
	;;#ASMSTART
	
             v_fmac_f32 v115, v247, v225 
             
	;;#ASMEND
	;;#ASMSTART
	
             v_fmac_f32 v114, v247, v226 
             
	;;#ASMEND
	;;#ASMSTART
	
             v_fmac_f32 v112, v247, v227 
             
	;;#ASMEND
	;;#ASMSTART
	
             v_fmac_f32 v113, v247, v228 
             
	;;#ASMEND
	ds_load_b128 v[225:228], v181 offset:24064
	;;#ASMSTART
	
             v_fmac_f32 v130, v244, v240 
             
	;;#ASMEND
	;;#ASMSTART
	
             v_fmac_f32 v131, v244, v241 
             
	;;#ASMEND
	;; [unrolled: 5-line block ×16, first 2 shown]
	ds_load_b128 v[240:243], v181 offset:24320
	ds_load_b128 v[244:247], v180 offset:7936
	s_waitcnt lgkmcnt(2)
	;;#ASMSTART
	
             v_fmac_f32 v178, v32, v225 
             
	;;#ASMEND
	;;#ASMSTART
	
             v_fmac_f32 v179, v32, v226 
             
	;;#ASMEND
	;; [unrolled: 5-line block ×16, first 2 shown]
	s_waitcnt lgkmcnt(1)
	;;#ASMSTART
	
             v_fmac_f32 v166, v32, v240 
             
	;;#ASMEND
	;;#ASMSTART
	
             v_fmac_f32 v167, v32, v241 
             
	;;#ASMEND
	;; [unrolled: 5-line block ×16, first 2 shown]
	s_waitcnt lgkmcnt(0)
	;;#ASMSTART
	
             v_fmac_f32 v132, v244, v225 
             
	;;#ASMEND
	;;#ASMSTART
	
             v_fmac_f32 v135, v244, v226 
             
	;;#ASMEND
	;;#ASMSTART
	
             v_fmac_f32 v134, v244, v227 
             
	;;#ASMEND
	;;#ASMSTART
	
             v_fmac_f32 v133, v244, v228 
             
	;;#ASMEND
	;;#ASMSTART
	
             v_fmac_f32 v55, v245, v225 
             
	;;#ASMEND
	;;#ASMSTART
	
             v_fmac_f32 v54, v245, v226 
             
	;;#ASMEND
	;;#ASMSTART
	
             v_fmac_f32 v53, v245, v227 
             
	;;#ASMEND
	;;#ASMSTART
	
             v_fmac_f32 v52, v245, v228 
             
	;;#ASMEND
	;;#ASMSTART
	
             v_fmac_f32 v99, v246, v225 
             
	;;#ASMEND
	;;#ASMSTART
	
             v_fmac_f32 v98, v246, v226 
             
	;;#ASMEND
	;;#ASMSTART
	
             v_fmac_f32 v97, v246, v227 
             
	;;#ASMEND
	;;#ASMSTART
	
             v_fmac_f32 v96, v246, v228 
             
	;;#ASMEND
	;;#ASMSTART
	
             v_fmac_f32 v115, v247, v225 
             
	;;#ASMEND
	;;#ASMSTART
	
             v_fmac_f32 v114, v247, v226 
             
	;;#ASMEND
	;;#ASMSTART
	
             v_fmac_f32 v112, v247, v227 
             
	;;#ASMEND
	;;#ASMSTART
	
             v_fmac_f32 v113, v247, v228 
             
	;;#ASMEND
	;;#ASMSTART
	
             v_fmac_f32 v130, v244, v240 
             
	;;#ASMEND
	;;#ASMSTART
	
             v_fmac_f32 v131, v244, v241 
             
	;;#ASMEND
	;;#ASMSTART
	
             v_fmac_f32 v39, v244, v242 
             
	;;#ASMEND
	;;#ASMSTART
	
             v_fmac_f32 v129, v244, v243 
             
	;;#ASMEND
	;;#ASMSTART
	
             v_fmac_f32 v86, v245, v240 
             
	;;#ASMEND
	;;#ASMSTART
	
             v_fmac_f32 v87, v245, v241 
             
	;;#ASMEND
	;;#ASMSTART
	
             v_fmac_f32 v84, v245, v242 
             
	;;#ASMEND
	;;#ASMSTART
	
             v_fmac_f32 v85, v245, v243 
             
	;;#ASMEND
	;;#ASMSTART
	
             v_fmac_f32 v102, v246, v240 
             
	;;#ASMEND
	;;#ASMSTART
	
             v_fmac_f32 v103, v246, v241 
             
	;;#ASMEND
	;;#ASMSTART
	
             v_fmac_f32 v100, v246, v242 
             
	;;#ASMEND
	;;#ASMSTART
	
             v_fmac_f32 v101, v246, v243 
             
	;;#ASMEND
	;;#ASMSTART
	
             v_fmac_f32 v119, v247, v240 
             
	;;#ASMEND
	;;#ASMSTART
	
             v_fmac_f32 v117, v247, v241 
             
	;;#ASMEND
	;;#ASMSTART
	
             v_fmac_f32 v118, v247, v242 
             
	;;#ASMEND
	;;#ASMSTART
	
             v_fmac_f32 v128, v247, v243 
             
	;;#ASMEND
	s_clause 0x5
	flat_load_b32 v225, v[8:9] offset:216
	flat_load_b64 v[35:36], v[8:9] offset:160
	flat_load_b64 v[33:34], v[8:9] offset:172
	;; [unrolled: 1-line block ×3, first 2 shown]
	flat_load_b32 v227, v[8:9] offset:76
	flat_load_b32 v226, v[8:9] offset:92
	ds_store_2addr_stride64_b32 v183, v30, v208 offset0:2 offset1:4
	ds_store_2addr_stride64_b32 v183, v49, v31 offset0:6 offset1:8
	flat_load_b96 v[30:32], v[8:9] offset:20
	ds_store_2addr_stride64_b32 v183, v212, v211 offset0:10 offset1:12
	ds_store_2addr_stride64_b32 v182, v26, v224 offset0:32 offset1:96
	;; [unrolled: 1-line block ×5, first 2 shown]
	ds_store_b32 v183, v48 offset:3584
	ds_store_b32 v192, v19 offset:3584
	s_clause 0x1
	flat_load_b128 v[16:19], v[8:9] offset:36
	flat_load_b64 v[48:49], v[8:9] offset:52
	flat_load_b32 v211, v[10:11] offset:48
	s_clause 0x1
	flat_load_b32 v212, v[8:9] offset:200
	flat_load_b32 v26, v[8:9] offset:188
	s_waitcnt vmcnt(11) lgkmcnt(20)
	v_mul_lo_u32 v213, v225, 12
	s_waitcnt vmcnt(4) lgkmcnt(4)
	v_sub_nc_u32_e32 v16, v16, v18
	s_waitcnt vmcnt(3) lgkmcnt(3)
	v_sub_nc_u32_e32 v19, v19, v49
	s_delay_alu instid0(VALU_DEP_3) | instskip(SKIP_3) | instid1(VALU_DEP_3)
	v_add_nc_u32_e32 v197, v213, v197
	v_add_nc_u32_e32 v213, v213, v27
	s_waitcnt vmcnt(2) lgkmcnt(2)
	v_mul_lo_u32 v27, v211, 12
	v_mul_hi_u32 v208, v197, v36
	s_waitcnt vmcnt(1) lgkmcnt(1)
	v_cmp_lt_i32_e64 s1, v213, v212
	s_delay_alu instid0(VALU_DEP_3) | instskip(SKIP_1) | instid1(VALU_DEP_4)
	v_add_nc_u32_e32 v49, v27, v210
	v_add_nc_u32_e32 v209, v27, v209
	;; [unrolled: 1-line block ×3, first 2 shown]
	s_delay_alu instid0(VALU_DEP_1) | instskip(NEXT) | instid1(VALU_DEP_1)
	v_lshrrev_b32_e32 v214, v34, v208
	v_mul_hi_u32 v208, v214, v35
	v_mul_lo_u32 v228, v214, v38
	s_delay_alu instid0(VALU_DEP_2) | instskip(NEXT) | instid1(VALU_DEP_1)
	v_add_nc_u32_e32 v208, v214, v208
	v_lshrrev_b32_e32 v208, v33, v208
	s_delay_alu instid0(VALU_DEP_1) | instskip(SKIP_1) | instid1(VALU_DEP_1)
	v_mul_lo_u32 v215, v208, v37
	v_sub_nc_u32_e32 v196, v208, v196
	v_mul_lo_u32 v196, v196, v227
	s_delay_alu instid0(VALU_DEP_3) | instskip(NEXT) | instid1(VALU_DEP_1)
	v_sub_nc_u32_e32 v224, v214, v215
	v_sub_nc_u32_e32 v214, v224, v199
	;; [unrolled: 1-line block ×3, first 2 shown]
	s_delay_alu instid0(VALU_DEP_4) | instskip(SKIP_1) | instid1(VALU_DEP_4)
	v_mul_lo_u32 v230, v196, v30
	v_add_nc_u32_e32 v215, v196, v28
	v_mul_lo_u32 v214, v214, v226
	s_delay_alu instid0(VALU_DEP_4) | instskip(NEXT) | instid1(VALU_DEP_3)
	v_sub_nc_u32_e32 v198, v199, v198
	v_cmp_le_i32_e64 s2, v17, v215
	v_cmp_gt_i32_e64 s3, v16, v215
	s_delay_alu instid0(VALU_DEP_3) | instskip(SKIP_2) | instid1(VALU_DEP_1)
	v_mad_u64_u32 v[228:229], null, v32, v198, v[0:1]
	v_mul_lo_u32 v231, v214, v31
	v_add_nc_u32_e32 v214, v214, v29
	v_cmp_le_i32_e32 vcc_lo, v48, v214
	v_cmp_gt_i32_e64 s0, v19, v214
	s_delay_alu instid0(VALU_DEP_4) | instskip(NEXT) | instid1(VALU_DEP_2)
	v_add3_u32 v0, v228, v230, v231
	s_and_b32 s0, vcc_lo, s0
	s_waitcnt vmcnt(0) lgkmcnt(0)
	v_cmp_lt_i32_e32 vcc_lo, v194, v26
	s_and_b32 s0, s1, s0
	s_and_b32 s1, s2, s3
	v_lshlrev_b32_e32 v18, 2, v0
	s_and_b32 s0, s0, s1
	s_mov_b32 s3, exec_lo
	s_and_b32 s0, vcc_lo, s0
.LBB7_18:                               ;   Parent Loop BB7_9 Depth=1
                                        ; =>  This Inner Loop Header: Depth=2
	v_readfirstlane_b32 s4, v22
	v_readfirstlane_b32 s5, v23
	;; [unrolled: 1-line block ×4, first 2 shown]
	s_delay_alu instid0(VALU_DEP_3) | instskip(NEXT) | instid1(VALU_DEP_2)
	v_cmp_eq_u64_e64 s1, s[4:5], v[22:23]
	v_cmp_eq_u64_e64 s2, s[6:7], v[24:25]
	s_delay_alu instid0(VALU_DEP_1) | instskip(NEXT) | instid1(SALU_CYCLE_1)
	s_and_b32 s1, s1, s2
	s_and_saveexec_b32 s1, s1
	buffer_load_b128 v[26:29], v18, s[4:7], 0 offen
                                        ; implicit-def: $vgpr18
	s_xor_b32 exec_lo, exec_lo, s1
	s_cbranch_execnz .LBB7_18
; %bb.19:                               ;   in Loop: Header=BB7_9 Depth=1
	s_mov_b32 exec_lo, s3
	v_lshlrev_b32_e32 v18, 2, v225
	s_delay_alu instid0(VALU_DEP_1) | instskip(NEXT) | instid1(VALU_DEP_1)
	v_add_nc_u32_e32 v197, v18, v197
	v_mul_hi_u32 v36, v197, v36
	s_delay_alu instid0(VALU_DEP_1) | instskip(NEXT) | instid1(VALU_DEP_1)
	v_add_nc_u32_e32 v36, v197, v36
	v_lshrrev_b32_e32 v34, v34, v36
	s_delay_alu instid0(VALU_DEP_1) | instskip(NEXT) | instid1(VALU_DEP_1)
	v_mul_hi_u32 v35, v34, v35
	v_add_nc_u32_e32 v35, v34, v35
	s_delay_alu instid0(VALU_DEP_1) | instskip(SKIP_1) | instid1(VALU_DEP_2)
	v_lshrrev_b32_e32 v196, v33, v35
	v_mul_lo_u32 v35, v34, v38
	v_mul_lo_u32 v33, v196, v37
	s_delay_alu instid0(VALU_DEP_1) | instskip(SKIP_1) | instid1(VALU_DEP_4)
	v_sub_nc_u32_e32 v198, v34, v33
	v_sub_nc_u32_e32 v33, v196, v208
	;; [unrolled: 1-line block ×3, first 2 shown]
	s_delay_alu instid0(VALU_DEP_3) | instskip(NEXT) | instid1(VALU_DEP_3)
	v_sub_nc_u32_e32 v34, v198, v224
	v_mul_lo_u32 v37, v33, v227
	s_delay_alu instid0(VALU_DEP_3)
	v_sub_nc_u32_e32 v38, v208, v199
	s_waitcnt vmcnt(0)
	v_cndmask_b32_e64 v33, 0, v29, s0
	v_mul_lo_u32 v210, v34, v226
	v_cndmask_b32_e64 v34, 0, v28, s0
	v_mad_u64_u32 v[35:36], null, v32, v38, v[0:1]
	v_mul_lo_u32 v0, v37, v30
	v_add_nc_u32_e32 v199, v37, v215
	v_cndmask_b32_e64 v30, 0, v27, s0
	v_add_nc_u32_e32 v27, v18, v213
	v_add_nc_u32_e32 v28, v210, v214
	v_mul_lo_u32 v29, v210, v31
	v_cmp_le_i32_e64 s1, v17, v199
	v_cmp_gt_i32_e64 s4, v16, v199
	v_cmp_lt_i32_e64 s5, v27, v212
	v_cmp_le_i32_e64 s2, v48, v28
	v_cmp_gt_i32_e64 s3, v19, v28
	v_cndmask_b32_e64 v31, 0, v26, s0
	s_and_b32 s1, s1, s4
	v_add3_u32 v0, v35, v0, v29
	s_delay_alu instid0(VALU_DEP_3) | instskip(SKIP_2) | instid1(VALU_DEP_1)
	s_and_b32 s0, s2, s3
	s_mov_b32 s2, exec_lo
	s_and_b32 s0, s5, s0
	v_lshlrev_b32_e32 v26, 2, v0
	s_and_b32 s0, s1, s0
	s_delay_alu instid0(SALU_CYCLE_1)
	s_and_b32 s0, vcc_lo, s0
.LBB7_20:                               ;   Parent Loop BB7_9 Depth=1
                                        ; =>  This Inner Loop Header: Depth=2
	v_readfirstlane_b32 s4, v22
	v_readfirstlane_b32 s5, v23
	;; [unrolled: 1-line block ×4, first 2 shown]
	s_delay_alu instid0(VALU_DEP_3) | instskip(NEXT) | instid1(VALU_DEP_2)
	v_cmp_eq_u64_e32 vcc_lo, s[4:5], v[22:23]
	v_cmp_eq_u64_e64 s1, s[6:7], v[24:25]
	s_delay_alu instid0(VALU_DEP_1) | instskip(NEXT) | instid1(SALU_CYCLE_1)
	s_and_b32 s1, vcc_lo, s1
	s_and_saveexec_b32 s1, s1
	buffer_load_b128 v[16:19], v26, s[4:7], 0 offen
                                        ; implicit-def: $vgpr26
	s_xor_b32 exec_lo, exec_lo, s1
	s_cbranch_execnz .LBB7_20
; %bb.21:                               ;   in Loop: Header=BB7_9 Depth=1
	s_mov_b32 exec_lo, s2
	s_clause 0x1
	flat_load_b32 v210, v[10:11] offset:32
	flat_load_b32 v26, v[10:11] offset:20
	s_waitcnt vmcnt(2)
	v_cndmask_b32_e64 v32, 0, v19, s0
	v_cndmask_b32_e64 v35, 0, v18, s0
	;; [unrolled: 1-line block ×4, first 2 shown]
	s_mov_b32 s3, exec_lo
	s_waitcnt vmcnt(1) lgkmcnt(1)
	v_cmp_gt_i32_e64 s1, v210, v49
	s_waitcnt vmcnt(0) lgkmcnt(0)
	v_cmp_gt_i32_e32 vcc_lo, v26, v193
	v_lshlrev_b32_e32 v26, 2, v209
	s_delay_alu instid0(VALU_DEP_3)
	s_and_b32 s0, vcc_lo, s1
.LBB7_22:                               ;   Parent Loop BB7_9 Depth=1
                                        ; =>  This Inner Loop Header: Depth=2
	v_readfirstlane_b32 s4, v2
	v_readfirstlane_b32 s5, v3
	;; [unrolled: 1-line block ×4, first 2 shown]
	s_delay_alu instid0(VALU_DEP_3) | instskip(NEXT) | instid1(VALU_DEP_2)
	v_cmp_eq_u64_e64 s1, s[4:5], v[2:3]
	v_cmp_eq_u64_e64 s2, s[6:7], v[4:5]
	s_delay_alu instid0(VALU_DEP_1) | instskip(NEXT) | instid1(SALU_CYCLE_1)
	s_and_b32 s1, s1, s2
	s_and_saveexec_b32 s1, s1
	buffer_load_b128 v[16:19], v26, s[4:7], 0 offen
                                        ; implicit-def: $vgpr26
	s_xor_b32 exec_lo, exec_lo, s1
	s_cbranch_execnz .LBB7_22
; %bb.23:                               ;   in Loop: Header=BB7_9 Depth=1
	s_mov_b32 exec_lo, s3
	v_lshlrev_b32_e32 v26, 2, v211
	s_waitcnt vmcnt(0)
	v_cndmask_b32_e64 v38, 0, v19, s0
	v_cndmask_b32_e64 v48, 0, v18, s0
	s_mov_b32 s2, exec_lo
	v_add_nc_u32_e32 v29, v26, v49
	v_add_nc_u32_e32 v26, v26, v209
	v_cndmask_b32_e64 v209, 0, v17, s0
	v_cndmask_b32_e64 v49, 0, v16, s0
	s_delay_alu instid0(VALU_DEP_4) | instskip(NEXT) | instid1(VALU_DEP_4)
	v_cmp_gt_i32_e64 s1, v210, v29
	v_lshlrev_b32_e32 v210, 2, v26
	s_delay_alu instid0(VALU_DEP_2)
	s_and_b32 vcc_lo, vcc_lo, s1
.LBB7_24:                               ;   Parent Loop BB7_9 Depth=1
                                        ; =>  This Inner Loop Header: Depth=2
	v_readfirstlane_b32 s4, v2
	v_readfirstlane_b32 s5, v3
	;; [unrolled: 1-line block ×4, first 2 shown]
	s_delay_alu instid0(VALU_DEP_3) | instskip(NEXT) | instid1(VALU_DEP_2)
	v_cmp_eq_u64_e64 s0, s[4:5], v[2:3]
	v_cmp_eq_u64_e64 s1, s[6:7], v[4:5]
	s_delay_alu instid0(VALU_DEP_1) | instskip(NEXT) | instid1(SALU_CYCLE_1)
	s_and_b32 s0, s0, s1
	s_and_saveexec_b32 s0, s0
	buffer_load_b128 v[16:19], v210, s[4:7], 0 offen
                                        ; implicit-def: $vgpr210
	s_xor_b32 exec_lo, exec_lo, s0
	s_cbranch_execnz .LBB7_24
; %bb.25:                               ;   in Loop: Header=BB7_9 Depth=1
	s_mov_b32 exec_lo, s2
	s_waitcnt vmcnt(0) lgkmcnt(0)
	s_barrier
	ds_load_b128 v[210:213], v180 offset:8192
	ds_load_b128 v[224:227], v181 offset:24576
	;; [unrolled: 1-line block ×4, first 2 shown]
	s_add_i32 s11, s11, 32
	v_dual_cndmask_b32 v214, 0, v19 :: v_dual_cndmask_b32 v215, 0, v18
	s_waitcnt lgkmcnt(2)
	;;#ASMSTART
	
             v_fmac_f32 v178, v210, v224 
             
	;;#ASMEND
	;;#ASMSTART
	
             v_fmac_f32 v179, v210, v225 
             
	;;#ASMEND
	;; [unrolled: 5-line block ×16, first 2 shown]
	s_waitcnt lgkmcnt(1)
	;;#ASMSTART
	
             v_fmac_f32 v166, v210, v228 
             
	;;#ASMEND
	;;#ASMSTART
	
             v_fmac_f32 v167, v210, v229 
             
	;;#ASMEND
	;; [unrolled: 5-line block ×16, first 2 shown]
	ds_load_b128 v[210:213], v180 offset:8704
	s_waitcnt lgkmcnt(1)
	;;#ASMSTART
	
             v_fmac_f32 v132, v240, v224 
             
	;;#ASMEND
	;;#ASMSTART
	
             v_fmac_f32 v135, v240, v225 
             
	;;#ASMEND
	;; [unrolled: 5-line block ×16, first 2 shown]
	ds_load_b128 v[224:227], v181 offset:25088
	;;#ASMSTART
	
             v_fmac_f32 v130, v240, v228 
             
	;;#ASMEND
	;;#ASMSTART
	
             v_fmac_f32 v131, v240, v229 
             
	;;#ASMEND
	;; [unrolled: 5-line block ×16, first 2 shown]
	ds_load_b128 v[228:231], v181 offset:25344
	ds_load_b128 v[240:243], v180 offset:8960
	s_waitcnt lgkmcnt(2)
	;;#ASMSTART
	
             v_fmac_f32 v178, v210, v224 
             
	;;#ASMEND
	;;#ASMSTART
	
             v_fmac_f32 v179, v210, v225 
             
	;;#ASMEND
	;; [unrolled: 5-line block ×16, first 2 shown]
	s_waitcnt lgkmcnt(1)
	;;#ASMSTART
	
             v_fmac_f32 v166, v210, v228 
             
	;;#ASMEND
	;;#ASMSTART
	
             v_fmac_f32 v167, v210, v229 
             
	;;#ASMEND
	;; [unrolled: 5-line block ×16, first 2 shown]
	ds_load_b128 v[210:213], v180 offset:9216
	s_waitcnt lgkmcnt(1)
	;;#ASMSTART
	
             v_fmac_f32 v132, v240, v224 
             
	;;#ASMEND
	;;#ASMSTART
	
             v_fmac_f32 v135, v240, v225 
             
	;;#ASMEND
	;; [unrolled: 5-line block ×16, first 2 shown]
	ds_load_b128 v[224:227], v181 offset:25600
	;;#ASMSTART
	
             v_fmac_f32 v130, v240, v228 
             
	;;#ASMEND
	;;#ASMSTART
	
             v_fmac_f32 v131, v240, v229 
             
	;;#ASMEND
	;; [unrolled: 5-line block ×16, first 2 shown]
	ds_load_b128 v[228:231], v181 offset:25856
	ds_load_b128 v[240:243], v180 offset:9472
	s_waitcnt lgkmcnt(2)
	;;#ASMSTART
	
             v_fmac_f32 v178, v210, v224 
             
	;;#ASMEND
	;;#ASMSTART
	
             v_fmac_f32 v179, v210, v225 
             
	;;#ASMEND
	;; [unrolled: 5-line block ×16, first 2 shown]
	s_waitcnt lgkmcnt(1)
	;;#ASMSTART
	
             v_fmac_f32 v166, v210, v228 
             
	;;#ASMEND
	;;#ASMSTART
	
             v_fmac_f32 v167, v210, v229 
             
	;;#ASMEND
	;; [unrolled: 5-line block ×16, first 2 shown]
	ds_load_b128 v[210:213], v180 offset:9728
	s_waitcnt lgkmcnt(1)
	;;#ASMSTART
	
             v_fmac_f32 v132, v240, v224 
             
	;;#ASMEND
	;;#ASMSTART
	
             v_fmac_f32 v135, v240, v225 
             
	;;#ASMEND
	;; [unrolled: 5-line block ×16, first 2 shown]
	ds_load_b128 v[224:227], v181 offset:26112
	;;#ASMSTART
	
             v_fmac_f32 v130, v240, v228 
             
	;;#ASMEND
	;;#ASMSTART
	
             v_fmac_f32 v131, v240, v229 
             
	;;#ASMEND
	;; [unrolled: 5-line block ×16, first 2 shown]
	ds_load_b128 v[228:231], v181 offset:26368
	ds_load_b128 v[240:243], v180 offset:9984
	s_waitcnt lgkmcnt(2)
	;;#ASMSTART
	
             v_fmac_f32 v178, v210, v224 
             
	;;#ASMEND
	;;#ASMSTART
	
             v_fmac_f32 v179, v210, v225 
             
	;;#ASMEND
	;; [unrolled: 5-line block ×16, first 2 shown]
	s_waitcnt lgkmcnt(1)
	;;#ASMSTART
	
             v_fmac_f32 v166, v210, v228 
             
	;;#ASMEND
	;;#ASMSTART
	
             v_fmac_f32 v167, v210, v229 
             
	;;#ASMEND
	;; [unrolled: 5-line block ×16, first 2 shown]
	ds_load_b128 v[210:213], v180 offset:10240
	s_waitcnt lgkmcnt(1)
	;;#ASMSTART
	
             v_fmac_f32 v132, v240, v224 
             
	;;#ASMEND
	;;#ASMSTART
	
             v_fmac_f32 v135, v240, v225 
             
	;;#ASMEND
	;; [unrolled: 5-line block ×16, first 2 shown]
	ds_load_b128 v[224:227], v181 offset:26624
	;;#ASMSTART
	
             v_fmac_f32 v130, v240, v228 
             
	;;#ASMEND
	;;#ASMSTART
	
             v_fmac_f32 v131, v240, v229 
             
	;;#ASMEND
	;; [unrolled: 5-line block ×16, first 2 shown]
	ds_load_b128 v[228:231], v181 offset:26880
	ds_load_b128 v[240:243], v180 offset:10496
	s_waitcnt lgkmcnt(2)
	;;#ASMSTART
	
             v_fmac_f32 v178, v210, v224 
             
	;;#ASMEND
	;;#ASMSTART
	
             v_fmac_f32 v179, v210, v225 
             
	;;#ASMEND
	;; [unrolled: 5-line block ×16, first 2 shown]
	s_waitcnt lgkmcnt(1)
	;;#ASMSTART
	
             v_fmac_f32 v166, v210, v228 
             
	;;#ASMEND
	;;#ASMSTART
	
             v_fmac_f32 v167, v210, v229 
             
	;;#ASMEND
	;; [unrolled: 5-line block ×16, first 2 shown]
	ds_load_b128 v[210:213], v180 offset:10752
	s_waitcnt lgkmcnt(1)
	;;#ASMSTART
	
             v_fmac_f32 v132, v240, v224 
             
	;;#ASMEND
	;;#ASMSTART
	
             v_fmac_f32 v135, v240, v225 
             
	;;#ASMEND
	;; [unrolled: 5-line block ×16, first 2 shown]
	ds_load_b128 v[224:227], v181 offset:27136
	;;#ASMSTART
	
             v_fmac_f32 v130, v240, v228 
             
	;;#ASMEND
	;;#ASMSTART
	
             v_fmac_f32 v131, v240, v229 
             
	;;#ASMEND
	;; [unrolled: 5-line block ×16, first 2 shown]
	ds_load_b128 v[228:231], v181 offset:27392
	ds_load_b128 v[240:243], v180 offset:11008
	s_waitcnt lgkmcnt(2)
	;;#ASMSTART
	
             v_fmac_f32 v178, v210, v224 
             
	;;#ASMEND
	;;#ASMSTART
	
             v_fmac_f32 v179, v210, v225 
             
	;;#ASMEND
	;; [unrolled: 5-line block ×16, first 2 shown]
	s_waitcnt lgkmcnt(1)
	;;#ASMSTART
	
             v_fmac_f32 v166, v210, v228 
             
	;;#ASMEND
	;;#ASMSTART
	
             v_fmac_f32 v167, v210, v229 
             
	;;#ASMEND
	;;#ASMSTART
	
             v_fmac_f32 v164, v210, v230 
             
	;;#ASMEND
	;;#ASMSTART
	
             v_fmac_f32 v165, v210, v231 
             
	;;#ASMEND
	;;#ASMSTART
	
             v_fmac_f32 v150, v211, v228 
             
	;;#ASMEND
	;;#ASMSTART
	
             v_fmac_f32 v151, v211, v229 
             
	;;#ASMEND
	;;#ASMSTART
	
             v_fmac_f32 v70, v211, v230 
             
	;;#ASMEND
	;;#ASMSTART
	
             v_fmac_f32 v71, v211, v231 
             
	;;#ASMEND
	;;#ASMSTART
	
             v_fmac_f32 v66, v212, v228 
             
	;;#ASMEND
	;;#ASMSTART
	
             v_fmac_f32 v67, v212, v229 
             
	;;#ASMEND
	;;#ASMSTART
	
             v_fmac_f32 v64, v212, v230 
             
	;;#ASMEND
	;;#ASMSTART
	
             v_fmac_f32 v65, v212, v231 
             
	;;#ASMEND
	;;#ASMSTART
	
             v_fmac_f32 v83, v213, v228 
             
	;;#ASMEND
	;;#ASMSTART
	
             v_fmac_f32 v82, v213, v229 
             
	;;#ASMEND
	;;#ASMSTART
	
             v_fmac_f32 v80, v213, v230 
             
	;;#ASMEND
	;;#ASMSTART
	
             v_fmac_f32 v81, v213, v231 
             
	;;#ASMEND
	ds_load_b128 v[210:213], v180 offset:11264
	s_waitcnt lgkmcnt(1)
	;;#ASMSTART
	
             v_fmac_f32 v132, v240, v224 
             
	;;#ASMEND
	;;#ASMSTART
	
             v_fmac_f32 v135, v240, v225 
             
	;;#ASMEND
	;; [unrolled: 5-line block ×16, first 2 shown]
	ds_load_b128 v[224:227], v181 offset:27648
	;;#ASMSTART
	
             v_fmac_f32 v130, v240, v228 
             
	;;#ASMEND
	;;#ASMSTART
	
             v_fmac_f32 v131, v240, v229 
             
	;;#ASMEND
	;; [unrolled: 5-line block ×16, first 2 shown]
	ds_load_b128 v[228:231], v181 offset:27904
	ds_load_b128 v[240:243], v180 offset:11520
	s_waitcnt lgkmcnt(2)
	;;#ASMSTART
	
             v_fmac_f32 v178, v210, v224 
             
	;;#ASMEND
	;;#ASMSTART
	
             v_fmac_f32 v179, v210, v225 
             
	;;#ASMEND
	;; [unrolled: 5-line block ×16, first 2 shown]
	s_waitcnt lgkmcnt(1)
	;;#ASMSTART
	
             v_fmac_f32 v166, v210, v228 
             
	;;#ASMEND
	;;#ASMSTART
	
             v_fmac_f32 v167, v210, v229 
             
	;;#ASMEND
	;; [unrolled: 5-line block ×16, first 2 shown]
	ds_load_b128 v[210:213], v180 offset:11776
	s_waitcnt lgkmcnt(1)
	;;#ASMSTART
	
             v_fmac_f32 v132, v240, v224 
             
	;;#ASMEND
	;;#ASMSTART
	
             v_fmac_f32 v135, v240, v225 
             
	;;#ASMEND
	;; [unrolled: 5-line block ×16, first 2 shown]
	ds_load_b128 v[224:227], v181 offset:28160
	;;#ASMSTART
	
             v_fmac_f32 v130, v240, v228 
             
	;;#ASMEND
	;;#ASMSTART
	
             v_fmac_f32 v131, v240, v229 
             
	;;#ASMEND
	;; [unrolled: 5-line block ×16, first 2 shown]
	ds_load_b128 v[228:231], v181 offset:28416
	ds_load_b128 v[240:243], v180 offset:12032
	s_waitcnt lgkmcnt(2)
	;;#ASMSTART
	
             v_fmac_f32 v178, v210, v224 
             
	;;#ASMEND
	;;#ASMSTART
	
             v_fmac_f32 v179, v210, v225 
             
	;;#ASMEND
	;;#ASMSTART
	
             v_fmac_f32 v176, v210, v226 
             
	;;#ASMEND
	;;#ASMSTART
	
             v_fmac_f32 v177, v210, v227 
             
	;;#ASMEND
	;;#ASMSTART
	
             v_fmac_f32 v163, v211, v224 
             
	;;#ASMEND
	;;#ASMSTART
	
             v_fmac_f32 v162, v211, v225 
             
	;;#ASMEND
	;;#ASMSTART
	
             v_fmac_f32 v161, v211, v226 
             
	;;#ASMEND
	;;#ASMSTART
	
             v_fmac_f32 v160, v211, v227 
             
	;;#ASMEND
	;;#ASMSTART
	
             v_fmac_f32 v149, v212, v224 
             
	;;#ASMEND
	;;#ASMSTART
	
             v_fmac_f32 v148, v212, v225 
             
	;;#ASMEND
	;;#ASMSTART
	
             v_fmac_f32 v51, v212, v226 
             
	;;#ASMEND
	;;#ASMSTART
	
             v_fmac_f32 v50, v212, v227 
             
	;;#ASMEND
	;;#ASMSTART
	
             v_fmac_f32 v147, v213, v224 
             
	;;#ASMEND
	;;#ASMSTART
	
             v_fmac_f32 v146, v213, v225 
             
	;;#ASMEND
	;;#ASMSTART
	
             v_fmac_f32 v145, v213, v226 
             
	;;#ASMEND
	;;#ASMSTART
	
             v_fmac_f32 v144, v213, v227 
             
	;;#ASMEND
	s_waitcnt lgkmcnt(1)
	;;#ASMSTART
	
             v_fmac_f32 v166, v210, v228 
             
	;;#ASMEND
	;;#ASMSTART
	
             v_fmac_f32 v167, v210, v229 
             
	;;#ASMEND
	;; [unrolled: 5-line block ×16, first 2 shown]
	ds_load_b128 v[210:213], v180 offset:12288
	s_waitcnt lgkmcnt(1)
	;;#ASMSTART
	
             v_fmac_f32 v132, v240, v224 
             
	;;#ASMEND
	;;#ASMSTART
	
             v_fmac_f32 v135, v240, v225 
             
	;;#ASMEND
	;; [unrolled: 5-line block ×16, first 2 shown]
	ds_load_b128 v[224:227], v181 offset:28672
	;;#ASMSTART
	
             v_fmac_f32 v130, v240, v228 
             
	;;#ASMEND
	;;#ASMSTART
	
             v_fmac_f32 v131, v240, v229 
             
	;;#ASMEND
	;; [unrolled: 5-line block ×16, first 2 shown]
	ds_load_b128 v[228:231], v181 offset:28928
	ds_load_b128 v[240:243], v180 offset:12544
	s_waitcnt lgkmcnt(2)
	;;#ASMSTART
	
             v_fmac_f32 v178, v210, v224 
             
	;;#ASMEND
	;;#ASMSTART
	
             v_fmac_f32 v179, v210, v225 
             
	;;#ASMEND
	;; [unrolled: 5-line block ×16, first 2 shown]
	s_waitcnt lgkmcnt(1)
	;;#ASMSTART
	
             v_fmac_f32 v166, v210, v228 
             
	;;#ASMEND
	;;#ASMSTART
	
             v_fmac_f32 v167, v210, v229 
             
	;;#ASMEND
	;; [unrolled: 5-line block ×16, first 2 shown]
	ds_load_b128 v[210:213], v180 offset:12800
	s_waitcnt lgkmcnt(1)
	;;#ASMSTART
	
             v_fmac_f32 v132, v240, v224 
             
	;;#ASMEND
	;;#ASMSTART
	
             v_fmac_f32 v135, v240, v225 
             
	;;#ASMEND
	;; [unrolled: 5-line block ×16, first 2 shown]
	ds_load_b128 v[224:227], v181 offset:29184
	;;#ASMSTART
	
             v_fmac_f32 v130, v240, v228 
             
	;;#ASMEND
	;;#ASMSTART
	
             v_fmac_f32 v131, v240, v229 
             
	;;#ASMEND
	;; [unrolled: 5-line block ×16, first 2 shown]
	ds_load_b128 v[228:231], v181 offset:29440
	ds_load_b128 v[240:243], v180 offset:13056
	s_waitcnt lgkmcnt(2)
	;;#ASMSTART
	
             v_fmac_f32 v178, v210, v224 
             
	;;#ASMEND
	;;#ASMSTART
	
             v_fmac_f32 v179, v210, v225 
             
	;;#ASMEND
	;;#ASMSTART
	
             v_fmac_f32 v176, v210, v226 
             
	;;#ASMEND
	;;#ASMSTART
	
             v_fmac_f32 v177, v210, v227 
             
	;;#ASMEND
	;;#ASMSTART
	
             v_fmac_f32 v163, v211, v224 
             
	;;#ASMEND
	;;#ASMSTART
	
             v_fmac_f32 v162, v211, v225 
             
	;;#ASMEND
	;;#ASMSTART
	
             v_fmac_f32 v161, v211, v226 
             
	;;#ASMEND
	;;#ASMSTART
	
             v_fmac_f32 v160, v211, v227 
             
	;;#ASMEND
	;;#ASMSTART
	
             v_fmac_f32 v149, v212, v224 
             
	;;#ASMEND
	;;#ASMSTART
	
             v_fmac_f32 v148, v212, v225 
             
	;;#ASMEND
	;;#ASMSTART
	
             v_fmac_f32 v51, v212, v226 
             
	;;#ASMEND
	;;#ASMSTART
	
             v_fmac_f32 v50, v212, v227 
             
	;;#ASMEND
	;;#ASMSTART
	
             v_fmac_f32 v147, v213, v224 
             
	;;#ASMEND
	;;#ASMSTART
	
             v_fmac_f32 v146, v213, v225 
             
	;;#ASMEND
	;;#ASMSTART
	
             v_fmac_f32 v145, v213, v226 
             
	;;#ASMEND
	;;#ASMSTART
	
             v_fmac_f32 v144, v213, v227 
             
	;;#ASMEND
	s_waitcnt lgkmcnt(1)
	;;#ASMSTART
	
             v_fmac_f32 v166, v210, v228 
             
	;;#ASMEND
	;;#ASMSTART
	
             v_fmac_f32 v167, v210, v229 
             
	;;#ASMEND
	;; [unrolled: 5-line block ×16, first 2 shown]
	ds_load_b128 v[210:213], v180 offset:13312
	s_waitcnt lgkmcnt(1)
	;;#ASMSTART
	
             v_fmac_f32 v132, v240, v224 
             
	;;#ASMEND
	;;#ASMSTART
	
             v_fmac_f32 v135, v240, v225 
             
	;;#ASMEND
	;; [unrolled: 5-line block ×16, first 2 shown]
	ds_load_b128 v[224:227], v181 offset:29696
	;;#ASMSTART
	
             v_fmac_f32 v130, v240, v228 
             
	;;#ASMEND
	;;#ASMSTART
	
             v_fmac_f32 v131, v240, v229 
             
	;;#ASMEND
	;; [unrolled: 5-line block ×16, first 2 shown]
	ds_load_b128 v[228:231], v181 offset:29952
	ds_load_b128 v[240:243], v180 offset:13568
	s_waitcnt lgkmcnt(2)
	;;#ASMSTART
	
             v_fmac_f32 v178, v210, v224 
             
	;;#ASMEND
	;;#ASMSTART
	
             v_fmac_f32 v179, v210, v225 
             
	;;#ASMEND
	;; [unrolled: 5-line block ×16, first 2 shown]
	s_waitcnt lgkmcnt(1)
	;;#ASMSTART
	
             v_fmac_f32 v166, v210, v228 
             
	;;#ASMEND
	;;#ASMSTART
	
             v_fmac_f32 v167, v210, v229 
             
	;;#ASMEND
	;; [unrolled: 5-line block ×16, first 2 shown]
	ds_load_b128 v[210:213], v180 offset:13824
	s_waitcnt lgkmcnt(1)
	;;#ASMSTART
	
             v_fmac_f32 v132, v240, v224 
             
	;;#ASMEND
	;;#ASMSTART
	
             v_fmac_f32 v135, v240, v225 
             
	;;#ASMEND
	;; [unrolled: 5-line block ×16, first 2 shown]
	ds_load_b128 v[224:227], v181 offset:30208
	;;#ASMSTART
	
             v_fmac_f32 v130, v240, v228 
             
	;;#ASMEND
	;;#ASMSTART
	
             v_fmac_f32 v131, v240, v229 
             
	;;#ASMEND
	;; [unrolled: 5-line block ×16, first 2 shown]
	ds_load_b128 v[228:231], v181 offset:30464
	ds_load_b128 v[240:243], v180 offset:14080
	s_waitcnt lgkmcnt(2)
	;;#ASMSTART
	
             v_fmac_f32 v178, v210, v224 
             
	;;#ASMEND
	;;#ASMSTART
	
             v_fmac_f32 v179, v210, v225 
             
	;;#ASMEND
	;; [unrolled: 5-line block ×16, first 2 shown]
	s_waitcnt lgkmcnt(1)
	;;#ASMSTART
	
             v_fmac_f32 v166, v210, v228 
             
	;;#ASMEND
	;;#ASMSTART
	
             v_fmac_f32 v167, v210, v229 
             
	;;#ASMEND
	;; [unrolled: 5-line block ×16, first 2 shown]
	ds_load_b128 v[210:213], v180 offset:14336
	s_waitcnt lgkmcnt(1)
	;;#ASMSTART
	
             v_fmac_f32 v132, v240, v224 
             
	;;#ASMEND
	;;#ASMSTART
	
             v_fmac_f32 v135, v240, v225 
             
	;;#ASMEND
	;; [unrolled: 5-line block ×16, first 2 shown]
	ds_load_b128 v[224:227], v181 offset:30720
	;;#ASMSTART
	
             v_fmac_f32 v130, v240, v228 
             
	;;#ASMEND
	;;#ASMSTART
	
             v_fmac_f32 v131, v240, v229 
             
	;;#ASMEND
	;; [unrolled: 5-line block ×16, first 2 shown]
	ds_load_b128 v[228:231], v181 offset:30976
	ds_load_b128 v[240:243], v180 offset:14592
	s_waitcnt lgkmcnt(2)
	;;#ASMSTART
	
             v_fmac_f32 v178, v210, v224 
             
	;;#ASMEND
	;;#ASMSTART
	
             v_fmac_f32 v179, v210, v225 
             
	;;#ASMEND
	;; [unrolled: 5-line block ×16, first 2 shown]
	s_waitcnt lgkmcnt(1)
	;;#ASMSTART
	
             v_fmac_f32 v166, v210, v228 
             
	;;#ASMEND
	;;#ASMSTART
	
             v_fmac_f32 v167, v210, v229 
             
	;;#ASMEND
	;; [unrolled: 5-line block ×16, first 2 shown]
	ds_load_b128 v[210:213], v180 offset:14848
	s_waitcnt lgkmcnt(1)
	;;#ASMSTART
	
             v_fmac_f32 v132, v240, v224 
             
	;;#ASMEND
	;;#ASMSTART
	
             v_fmac_f32 v135, v240, v225 
             
	;;#ASMEND
	;; [unrolled: 5-line block ×16, first 2 shown]
	ds_load_b128 v[224:227], v181 offset:31232
	;;#ASMSTART
	
             v_fmac_f32 v130, v240, v228 
             
	;;#ASMEND
	;;#ASMSTART
	
             v_fmac_f32 v131, v240, v229 
             
	;;#ASMEND
	;; [unrolled: 5-line block ×16, first 2 shown]
	ds_load_b128 v[228:231], v181 offset:31488
	ds_load_b128 v[240:243], v180 offset:15104
	s_waitcnt lgkmcnt(2)
	;;#ASMSTART
	
             v_fmac_f32 v178, v210, v224 
             
	;;#ASMEND
	;;#ASMSTART
	
             v_fmac_f32 v179, v210, v225 
             
	;;#ASMEND
	;; [unrolled: 5-line block ×16, first 2 shown]
	s_waitcnt lgkmcnt(1)
	;;#ASMSTART
	
             v_fmac_f32 v166, v210, v228 
             
	;;#ASMEND
	;;#ASMSTART
	
             v_fmac_f32 v167, v210, v229 
             
	;;#ASMEND
	;; [unrolled: 5-line block ×16, first 2 shown]
	ds_load_b128 v[210:213], v180 offset:15360
	s_waitcnt lgkmcnt(1)
	;;#ASMSTART
	
             v_fmac_f32 v132, v240, v224 
             
	;;#ASMEND
	;;#ASMSTART
	
             v_fmac_f32 v135, v240, v225 
             
	;;#ASMEND
	;; [unrolled: 5-line block ×16, first 2 shown]
	ds_load_b128 v[224:227], v181 offset:31744
	;;#ASMSTART
	
             v_fmac_f32 v130, v240, v228 
             
	;;#ASMEND
	;;#ASMSTART
	
             v_fmac_f32 v131, v240, v229 
             
	;;#ASMEND
	;; [unrolled: 5-line block ×16, first 2 shown]
	ds_load_b128 v[228:231], v181 offset:32000
	ds_load_b128 v[240:243], v180 offset:15616
	s_waitcnt lgkmcnt(2)
	;;#ASMSTART
	
             v_fmac_f32 v178, v210, v224 
             
	;;#ASMEND
	;;#ASMSTART
	
             v_fmac_f32 v179, v210, v225 
             
	;;#ASMEND
	;; [unrolled: 5-line block ×16, first 2 shown]
	s_waitcnt lgkmcnt(1)
	;;#ASMSTART
	
             v_fmac_f32 v166, v210, v228 
             
	;;#ASMEND
	;;#ASMSTART
	
             v_fmac_f32 v167, v210, v229 
             
	;;#ASMEND
	;; [unrolled: 5-line block ×16, first 2 shown]
	ds_load_b128 v[210:213], v180 offset:15872
	s_waitcnt lgkmcnt(1)
	;;#ASMSTART
	
             v_fmac_f32 v132, v240, v224 
             
	;;#ASMEND
	;;#ASMSTART
	
             v_fmac_f32 v135, v240, v225 
             
	;;#ASMEND
	;; [unrolled: 5-line block ×16, first 2 shown]
	ds_load_b128 v[224:227], v181 offset:32256
	;;#ASMSTART
	
             v_fmac_f32 v130, v240, v228 
             
	;;#ASMEND
	;;#ASMSTART
	
             v_fmac_f32 v131, v240, v229 
             
	;;#ASMEND
	;; [unrolled: 5-line block ×8, first 2 shown]
	v_dual_cndmask_b32 v240, 0, v17 :: v_dual_cndmask_b32 v241, 0, v16
	v_cmp_ge_i32_e32 vcc_lo, s11, v195
	;;#ASMSTART
	
             v_fmac_f32 v102, v242, v228 
             
	;;#ASMEND
	;;#ASMSTART
	
             v_fmac_f32 v103, v242, v229 
             
	;;#ASMEND
	;; [unrolled: 5-line block ×4, first 2 shown]
	s_or_b32 s10, vcc_lo, s10
	;;#ASMSTART
	
             v_fmac_f32 v119, v243, v228 
             
	;;#ASMEND
	;;#ASMSTART
	
             v_fmac_f32 v117, v243, v229 
             
	;;#ASMEND
	;; [unrolled: 5-line block ×4, first 2 shown]
	ds_load_b128 v[228:231], v181 offset:32512
	ds_load_b128 v[16:19], v180 offset:16128
	s_waitcnt lgkmcnt(2)
	;;#ASMSTART
	
             v_fmac_f32 v178, v210, v224 
             
	;;#ASMEND
	;;#ASMSTART
	
             v_fmac_f32 v179, v210, v225 
             
	;;#ASMEND
	;; [unrolled: 5-line block ×16, first 2 shown]
	s_waitcnt lgkmcnt(1)
	;;#ASMSTART
	
             v_fmac_f32 v166, v210, v228 
             
	;;#ASMEND
	;;#ASMSTART
	
             v_fmac_f32 v167, v210, v229 
             
	;;#ASMEND
	;; [unrolled: 5-line block ×16, first 2 shown]
	s_waitcnt lgkmcnt(0)
	;;#ASMSTART
	
             v_fmac_f32 v132, v16, v224 
             
	;;#ASMEND
	;;#ASMSTART
	
             v_fmac_f32 v135, v16, v225 
             
	;;#ASMEND
	;; [unrolled: 5-line block ×32, first 2 shown]
	ds_store_2addr_stride64_b32 v182, v31, v30 offset1:2
	ds_store_2addr_stride64_b32 v182, v34, v33 offset0:4 offset1:6
	ds_store_2addr_stride64_b32 v182, v37, v36 offset0:8 offset1:10
	;; [unrolled: 1-line block ×6, first 2 shown]
	ds_store_b32 v182, v49 offset:16384
	ds_store_b32 v1, v214 offset:3584
	s_and_not1_b32 exec_lo, exec_lo, s10
	s_cbranch_execnz .LBB7_9
; %bb.26:
	s_or_b32 exec_lo, exec_lo, s10
	s_clause 0x6
	flat_load_b32 v1, v[8:9] offset:216
	flat_load_b64 v[32:33], v[8:9] offset:160
	flat_load_b64 v[37:38], v[8:9] offset:172
	;; [unrolled: 1-line block ×3, first 2 shown]
	flat_load_b32 v195, v[8:9] offset:92
	flat_load_b32 v212, v[8:9] offset:76
	flat_load_b96 v[209:211], v[8:9] offset:20
	flat_load_b32 v213, v[10:11] offset:48
	s_waitcnt vmcnt(0) lgkmcnt(0)
	s_barrier
	s_clause 0x3
	flat_load_b32 v214, v[8:9] offset:188
	flat_load_b128 v[16:19], v[8:9] offset:36
	flat_load_b64 v[30:31], v[8:9] offset:52
	flat_load_b32 v34, v[8:9] offset:200
	v_mul_lo_u32 v215, v1, 12
	s_waitcnt vmcnt(3) lgkmcnt(3)
	v_cmp_lt_i32_e32 vcc_lo, v194, v214
	s_delay_alu instid0(VALU_DEP_2) | instskip(SKIP_3) | instid1(VALU_DEP_3)
	v_add_nc_u32_e32 v36, v215, v197
	s_waitcnt vmcnt(1) lgkmcnt(1)
	v_sub_nc_u32_e32 v19, v19, v31
	v_sub_nc_u32_e32 v16, v16, v18
	v_mul_hi_u32 v1, v36, v33
	s_delay_alu instid0(VALU_DEP_1) | instskip(NEXT) | instid1(VALU_DEP_1)
	v_add_nc_u32_e32 v1, v36, v1
	v_lshrrev_b32_e32 v1, v38, v1
	s_delay_alu instid0(VALU_DEP_1) | instskip(SKIP_2) | instid1(VALU_DEP_3)
	v_mul_hi_u32 v32, v1, v32
	v_mul_lo_u32 v33, v1, v49
	v_mul_lo_u32 v49, v213, 12
	v_add_nc_u32_e32 v32, v1, v32
	s_delay_alu instid0(VALU_DEP_2) | instskip(NEXT) | instid1(VALU_DEP_2)
	v_add_nc_u32_e32 v31, v49, v29
	v_lshrrev_b32_e32 v35, v37, v32
	s_delay_alu instid0(VALU_DEP_1) | instskip(SKIP_1) | instid1(VALU_DEP_1)
	v_mul_lo_u32 v32, v35, v48
	v_sub_nc_u32_e32 v37, v35, v196
	v_mul_lo_u32 v37, v37, v212
	s_delay_alu instid0(VALU_DEP_3) | instskip(SKIP_1) | instid1(VALU_DEP_2)
	v_sub_nc_u32_e32 v1, v1, v32
	v_sub_nc_u32_e32 v32, v36, v33
	;; [unrolled: 1-line block ×3, first 2 shown]
	s_delay_alu instid0(VALU_DEP_2) | instskip(SKIP_1) | instid1(VALU_DEP_3)
	v_sub_nc_u32_e32 v38, v32, v208
	v_add_nc_u32_e32 v48, v37, v199
	v_mul_lo_u32 v33, v33, v195
	s_delay_alu instid0(VALU_DEP_3)
	v_mad_u64_u32 v[194:195], null, v211, v38, v[0:1]
	v_mul_lo_u32 v0, v37, v209
	v_add_nc_u32_e32 v37, v215, v27
	v_cmp_le_i32_e64 s0, v17, v48
	v_cmp_gt_i32_e64 s3, v16, v48
	v_add_nc_u32_e32 v38, v33, v28
	v_mul_lo_u32 v18, v33, v210
	s_waitcnt vmcnt(0) lgkmcnt(0)
	v_cmp_lt_i32_e64 s4, v37, v34
	s_and_b32 s0, s0, s3
	v_add_nc_u32_e32 v33, v49, v26
	v_cmp_le_i32_e64 s1, v30, v38
	v_cmp_gt_i32_e64 s2, v19, v38
	s_mov_b32 s3, exec_lo
	v_add3_u32 v18, v194, v0, v18
	s_delay_alu instid0(VALU_DEP_2) | instskip(NEXT) | instid1(SALU_CYCLE_1)
	s_and_b32 s1, s1, s2
	s_and_b32 s1, s4, s1
	s_delay_alu instid0(VALU_DEP_1) | instskip(SKIP_1) | instid1(SALU_CYCLE_1)
	v_lshlrev_b32_e32 v0, 2, v18
	s_and_b32 s0, s1, s0
	s_and_b32 s0, vcc_lo, s0
.LBB7_27:                               ; =>This Inner Loop Header: Depth=1
	v_readfirstlane_b32 s4, v22
	v_readfirstlane_b32 s5, v23
	;; [unrolled: 1-line block ×4, first 2 shown]
	s_delay_alu instid0(VALU_DEP_3) | instskip(NEXT) | instid1(VALU_DEP_2)
	v_cmp_eq_u64_e64 s1, s[4:5], v[22:23]
	v_cmp_eq_u64_e64 s2, s[6:7], v[24:25]
	s_delay_alu instid0(VALU_DEP_1) | instskip(NEXT) | instid1(SALU_CYCLE_1)
	s_and_b32 s1, s1, s2
	s_and_saveexec_b32 s1, s1
	buffer_load_b128 v[26:29], v0, s[4:7], 0 offen
                                        ; implicit-def: $vgpr0
	s_xor_b32 exec_lo, exec_lo, s1
	s_cbranch_execnz .LBB7_27
; %bb.28:
	s_mov_b32 exec_lo, s3
	s_clause 0x6
	flat_load_b32 v0, v[8:9] offset:216
	flat_load_b64 v[197:198], v[8:9] offset:160
	flat_load_b64 v[208:209], v[8:9] offset:172
	;; [unrolled: 1-line block ×3, first 2 shown]
	flat_load_b32 v49, v[8:9] offset:76
	flat_load_b32 v199, v[8:9] offset:92
	flat_load_b96 v[194:196], v[8:9] offset:20
	s_waitcnt vmcnt(7)
	v_cndmask_b32_e64 v27, 0, v27, s0
	v_cndmask_b32_e64 v26, 0, v26, s0
	s_waitcnt vmcnt(6) lgkmcnt(6)
	v_lshlrev_b32_e32 v212, 2, v0
	s_delay_alu instid0(VALU_DEP_1) | instskip(SKIP_1) | instid1(VALU_DEP_1)
	v_add_nc_u32_e32 v36, v212, v36
	s_waitcnt vmcnt(5) lgkmcnt(5)
	v_mul_hi_u32 v0, v36, v198
	s_delay_alu instid0(VALU_DEP_1) | instskip(SKIP_1) | instid1(VALU_DEP_1)
	v_add_nc_u32_e32 v0, v36, v0
	s_waitcnt vmcnt(4) lgkmcnt(4)
	v_lshrrev_b32_e32 v198, v209, v0
	s_delay_alu instid0(VALU_DEP_1) | instskip(NEXT) | instid1(VALU_DEP_1)
	v_mul_hi_u32 v0, v198, v197
	v_add_nc_u32_e32 v0, v198, v0
	s_delay_alu instid0(VALU_DEP_1) | instskip(SKIP_1) | instid1(VALU_DEP_1)
	v_lshrrev_b32_e32 v0, v208, v0
	s_waitcnt vmcnt(3) lgkmcnt(3)
	v_mad_u64_u32 v[8:9], null, v0, v210, v[1:2]
	v_sub_nc_u32_e32 v9, v0, v35
	v_mad_u64_u32 v[0:1], null, v198, v211, v[32:33]
	v_add_nc_u32_e32 v35, v212, v37
	s_delay_alu instid0(VALU_DEP_4) | instskip(SKIP_2) | instid1(VALU_DEP_3)
	v_sub_nc_u32_e32 v1, v198, v8
	s_waitcnt vmcnt(2) lgkmcnt(2)
	v_mul_lo_u32 v8, v9, v49
	v_cmp_lt_i32_e64 s5, v35, v34
	v_sub_nc_u32_e32 v32, v36, v0
	v_cndmask_b32_e64 v0, 0, v29, s0
	s_waitcnt vmcnt(1) lgkmcnt(1)
	v_mul_lo_u32 v9, v1, v199
	v_cndmask_b32_e64 v1, 0, v28, s0
	s_waitcnt vmcnt(0) lgkmcnt(0)
	v_mul_lo_u32 v29, v196, v32
	v_add_nc_u32_e32 v28, v8, v48
	v_mul_lo_u32 v8, v8, v194
	v_add_nc_u32_e32 v32, v9, v38
	v_mul_lo_u32 v9, v9, v195
	s_delay_alu instid0(VALU_DEP_4) | instskip(SKIP_4) | instid1(VALU_DEP_4)
	v_cmp_le_i32_e64 s1, v17, v28
	v_cmp_gt_i32_e64 s4, v16, v28
	v_add3_u32 v8, v29, v18, v8
	v_cmp_le_i32_e64 s2, v30, v32
	v_cmp_gt_i32_e64 s3, v19, v32
	s_and_b32 s1, s1, s4
	s_delay_alu instid0(VALU_DEP_3) | instskip(NEXT) | instid1(VALU_DEP_2)
	v_add_lshl_u32 v8, v8, v9, 2
	s_and_b32 s0, s2, s3
	s_mov_b32 s2, exec_lo
	s_and_b32 s0, s5, s0
	s_delay_alu instid0(SALU_CYCLE_1) | instskip(NEXT) | instid1(SALU_CYCLE_1)
	s_and_b32 s0, s1, s0
	s_and_b32 s0, vcc_lo, s0
.LBB7_29:                               ; =>This Inner Loop Header: Depth=1
	v_readfirstlane_b32 s4, v22
	v_readfirstlane_b32 s5, v23
	;; [unrolled: 1-line block ×4, first 2 shown]
	s_delay_alu instid0(VALU_DEP_3) | instskip(NEXT) | instid1(VALU_DEP_2)
	v_cmp_eq_u64_e32 vcc_lo, s[4:5], v[22:23]
	v_cmp_eq_u64_e64 s1, s[6:7], v[24:25]
	s_delay_alu instid0(VALU_DEP_1) | instskip(NEXT) | instid1(SALU_CYCLE_1)
	s_and_b32 s1, vcc_lo, s1
	s_and_saveexec_b32 s1, s1
	buffer_load_b128 v[16:19], v8, s[4:7], 0 offen
                                        ; implicit-def: $vgpr22_vgpr23_vgpr24_vgpr25
                                        ; implicit-def: $vgpr8
	s_xor_b32 exec_lo, exec_lo, s1
	s_cbranch_execnz .LBB7_29
; %bb.30:
	s_mov_b32 exec_lo, s2
	s_clause 0x1
	flat_load_b32 v8, v[10:11] offset:32
	flat_load_b32 v9, v[10:11] offset:20
	s_waitcnt vmcnt(2)
	v_cndmask_b32_e64 v22, 0, v19, s0
	v_cndmask_b32_e64 v23, 0, v18, s0
	;; [unrolled: 1-line block ×4, first 2 shown]
	s_mov_b32 s3, exec_lo
	s_waitcnt vmcnt(1) lgkmcnt(1)
	v_cmp_gt_i32_e64 s1, v8, v31
	s_waitcnt vmcnt(0) lgkmcnt(0)
	v_cmp_gt_i32_e32 vcc_lo, v9, v193
	v_lshlrev_b32_e32 v9, 2, v33
	s_delay_alu instid0(VALU_DEP_3)
	s_and_b32 s0, vcc_lo, s1
.LBB7_31:                               ; =>This Inner Loop Header: Depth=1
	v_readfirstlane_b32 s4, v2
	v_readfirstlane_b32 s5, v3
	;; [unrolled: 1-line block ×4, first 2 shown]
	s_delay_alu instid0(VALU_DEP_3) | instskip(NEXT) | instid1(VALU_DEP_2)
	v_cmp_eq_u64_e64 s1, s[4:5], v[2:3]
	v_cmp_eq_u64_e64 s2, s[6:7], v[4:5]
	s_delay_alu instid0(VALU_DEP_1) | instskip(NEXT) | instid1(SALU_CYCLE_1)
	s_and_b32 s1, s1, s2
	s_and_saveexec_b32 s1, s1
	buffer_load_b128 v[16:19], v9, s[4:7], 0 offen
                                        ; implicit-def: $vgpr9
	s_xor_b32 exec_lo, exec_lo, s1
	s_cbranch_execnz .LBB7_31
; %bb.32:
	s_mov_b32 exec_lo, s3
	flat_load_b32 v9, v[10:11] offset:48
	s_waitcnt vmcnt(1)
	v_cndmask_b32_e64 v19, 0, v19, s0
	v_cndmask_b32_e64 v18, 0, v18, s0
	v_cndmask_b32_e64 v17, 0, v17, s0
	v_cndmask_b32_e64 v16, 0, v16, s0
	s_mov_b32 s2, exec_lo
	s_waitcnt vmcnt(0) lgkmcnt(0)
	v_lshlrev_b32_e32 v9, 2, v9
	s_delay_alu instid0(VALU_DEP_1) | instskip(SKIP_1) | instid1(VALU_DEP_2)
	v_add_nc_u32_e32 v10, v9, v31
	v_add_lshl_u32 v28, v9, v33, 2
	v_cmp_gt_i32_e64 s1, v8, v10
	s_delay_alu instid0(VALU_DEP_1)
	s_and_b32 vcc_lo, vcc_lo, s1
.LBB7_33:                               ; =>This Inner Loop Header: Depth=1
	v_readfirstlane_b32 s4, v2
	v_readfirstlane_b32 s5, v3
	;; [unrolled: 1-line block ×4, first 2 shown]
	s_delay_alu instid0(VALU_DEP_3) | instskip(NEXT) | instid1(VALU_DEP_2)
	v_cmp_eq_u64_e64 s0, s[4:5], v[2:3]
	v_cmp_eq_u64_e64 s1, s[6:7], v[4:5]
	s_delay_alu instid0(VALU_DEP_1) | instskip(NEXT) | instid1(SALU_CYCLE_1)
	s_and_b32 s0, s0, s1
	s_and_saveexec_b32 s0, s0
	buffer_load_b128 v[8:11], v28, s[4:7], 0 offen
                                        ; implicit-def: $vgpr2_vgpr3_vgpr4_vgpr5
                                        ; implicit-def: $vgpr28
	s_xor_b32 exec_lo, exec_lo, s0
	s_cbranch_execnz .LBB7_33
; %bb.34:
	s_mov_b32 exec_lo, s2
	ds_load_b128 v[2:5], v180
	ds_load_b128 v[28:31], v181 offset:16384
	ds_load_b128 v[32:35], v181 offset:16640
	;; [unrolled: 1-line block ×3, first 2 shown]
	s_waitcnt vmcnt(0)
	v_dual_cndmask_b32 v36, 0, v11 :: v_dual_cndmask_b32 v37, 0, v10
	v_cndmask_b32_e32 v38, 0, v9, vcc_lo
	v_cndmask_b32_e32 v48, 0, v8, vcc_lo
	s_waitcnt lgkmcnt(2)
	;;#ASMSTART
	
             v_fmac_f32 v178, v2, v28 
             
	;;#ASMEND
	;;#ASMSTART
	
             v_fmac_f32 v179, v2, v29 
             
	;;#ASMEND
	;; [unrolled: 5-line block ×16, first 2 shown]
	s_waitcnt lgkmcnt(1)
	;;#ASMSTART
	
             v_fmac_f32 v166, v2, v32 
             
	;;#ASMEND
	;;#ASMSTART
	
             v_fmac_f32 v167, v2, v33 
             
	;;#ASMEND
	;; [unrolled: 5-line block ×16, first 2 shown]
	ds_load_b128 v[2:5], v180 offset:512
	s_waitcnt lgkmcnt(1)
	;;#ASMSTART
	
             v_fmac_f32 v132, v193, v28 
             
	;;#ASMEND
	;;#ASMSTART
	
             v_fmac_f32 v135, v193, v29 
             
	;;#ASMEND
	;; [unrolled: 5-line block ×16, first 2 shown]
	ds_load_b128 v[28:31], v181 offset:16896
	;;#ASMSTART
	
             v_fmac_f32 v130, v193, v32 
             
	;;#ASMEND
	;;#ASMSTART
	
             v_fmac_f32 v131, v193, v33 
             
	;;#ASMEND
	;; [unrolled: 5-line block ×16, first 2 shown]
	ds_load_b128 v[32:35], v181 offset:17152
	ds_load_b128 v[193:196], v180 offset:768
	s_waitcnt lgkmcnt(2)
	;;#ASMSTART
	
             v_fmac_f32 v178, v2, v28 
             
	;;#ASMEND
	;;#ASMSTART
	
             v_fmac_f32 v179, v2, v29 
             
	;;#ASMEND
	;; [unrolled: 5-line block ×16, first 2 shown]
	s_waitcnt lgkmcnt(1)
	;;#ASMSTART
	
             v_fmac_f32 v166, v2, v32 
             
	;;#ASMEND
	;;#ASMSTART
	
             v_fmac_f32 v167, v2, v33 
             
	;;#ASMEND
	;; [unrolled: 5-line block ×16, first 2 shown]
	ds_load_b128 v[2:5], v180 offset:1024
	s_waitcnt lgkmcnt(1)
	;;#ASMSTART
	
             v_fmac_f32 v132, v193, v28 
             
	;;#ASMEND
	;;#ASMSTART
	
             v_fmac_f32 v135, v193, v29 
             
	;;#ASMEND
	;; [unrolled: 5-line block ×16, first 2 shown]
	ds_load_b128 v[28:31], v181 offset:17408
	;;#ASMSTART
	
             v_fmac_f32 v130, v193, v32 
             
	;;#ASMEND
	;;#ASMSTART
	
             v_fmac_f32 v131, v193, v33 
             
	;;#ASMEND
	;; [unrolled: 5-line block ×16, first 2 shown]
	ds_load_b128 v[32:35], v181 offset:17664
	ds_load_b128 v[193:196], v180 offset:1280
	s_waitcnt lgkmcnt(2)
	;;#ASMSTART
	
             v_fmac_f32 v178, v2, v28 
             
	;;#ASMEND
	;;#ASMSTART
	
             v_fmac_f32 v179, v2, v29 
             
	;;#ASMEND
	;; [unrolled: 5-line block ×16, first 2 shown]
	s_waitcnt lgkmcnt(1)
	;;#ASMSTART
	
             v_fmac_f32 v166, v2, v32 
             
	;;#ASMEND
	;;#ASMSTART
	
             v_fmac_f32 v167, v2, v33 
             
	;;#ASMEND
	;; [unrolled: 5-line block ×16, first 2 shown]
	ds_load_b128 v[2:5], v180 offset:1536
	s_waitcnt lgkmcnt(1)
	;;#ASMSTART
	
             v_fmac_f32 v132, v193, v28 
             
	;;#ASMEND
	;;#ASMSTART
	
             v_fmac_f32 v135, v193, v29 
             
	;;#ASMEND
	;; [unrolled: 5-line block ×16, first 2 shown]
	ds_load_b128 v[28:31], v181 offset:17920
	;;#ASMSTART
	
             v_fmac_f32 v130, v193, v32 
             
	;;#ASMEND
	;;#ASMSTART
	
             v_fmac_f32 v131, v193, v33 
             
	;;#ASMEND
	;; [unrolled: 5-line block ×16, first 2 shown]
	ds_load_b128 v[32:35], v181 offset:18176
	ds_load_b128 v[193:196], v180 offset:1792
	s_waitcnt lgkmcnt(2)
	;;#ASMSTART
	
             v_fmac_f32 v178, v2, v28 
             
	;;#ASMEND
	;;#ASMSTART
	
             v_fmac_f32 v179, v2, v29 
             
	;;#ASMEND
	;; [unrolled: 5-line block ×16, first 2 shown]
	s_waitcnt lgkmcnt(1)
	;;#ASMSTART
	
             v_fmac_f32 v166, v2, v32 
             
	;;#ASMEND
	;;#ASMSTART
	
             v_fmac_f32 v167, v2, v33 
             
	;;#ASMEND
	;; [unrolled: 5-line block ×16, first 2 shown]
	ds_load_b128 v[2:5], v180 offset:2048
	s_waitcnt lgkmcnt(1)
	;;#ASMSTART
	
             v_fmac_f32 v132, v193, v28 
             
	;;#ASMEND
	;;#ASMSTART
	
             v_fmac_f32 v135, v193, v29 
             
	;;#ASMEND
	;; [unrolled: 5-line block ×16, first 2 shown]
	ds_load_b128 v[28:31], v181 offset:18432
	;;#ASMSTART
	
             v_fmac_f32 v130, v193, v32 
             
	;;#ASMEND
	;;#ASMSTART
	
             v_fmac_f32 v131, v193, v33 
             
	;;#ASMEND
	;; [unrolled: 5-line block ×16, first 2 shown]
	ds_load_b128 v[32:35], v181 offset:18688
	ds_load_b128 v[193:196], v180 offset:2304
	s_waitcnt lgkmcnt(2)
	;;#ASMSTART
	
             v_fmac_f32 v178, v2, v28 
             
	;;#ASMEND
	;;#ASMSTART
	
             v_fmac_f32 v179, v2, v29 
             
	;;#ASMEND
	;;#ASMSTART
	
             v_fmac_f32 v176, v2, v30 
             
	;;#ASMEND
	;;#ASMSTART
	
             v_fmac_f32 v177, v2, v31 
             
	;;#ASMEND
	;;#ASMSTART
	
             v_fmac_f32 v163, v3, v28 
             
	;;#ASMEND
	;;#ASMSTART
	
             v_fmac_f32 v162, v3, v29 
             
	;;#ASMEND
	;;#ASMSTART
	
             v_fmac_f32 v161, v3, v30 
             
	;;#ASMEND
	;;#ASMSTART
	
             v_fmac_f32 v160, v3, v31 
             
	;;#ASMEND
	;;#ASMSTART
	
             v_fmac_f32 v149, v4, v28 
             
	;;#ASMEND
	;;#ASMSTART
	
             v_fmac_f32 v148, v4, v29 
             
	;;#ASMEND
	;;#ASMSTART
	
             v_fmac_f32 v51, v4, v30 
             
	;;#ASMEND
	;;#ASMSTART
	
             v_fmac_f32 v50, v4, v31 
             
	;;#ASMEND
	;;#ASMSTART
	
             v_fmac_f32 v147, v5, v28 
             
	;;#ASMEND
	;;#ASMSTART
	
             v_fmac_f32 v146, v5, v29 
             
	;;#ASMEND
	;;#ASMSTART
	
             v_fmac_f32 v145, v5, v30 
             
	;;#ASMEND
	;;#ASMSTART
	
             v_fmac_f32 v144, v5, v31 
             
	;;#ASMEND
	s_waitcnt lgkmcnt(1)
	;;#ASMSTART
	
             v_fmac_f32 v166, v2, v32 
             
	;;#ASMEND
	;;#ASMSTART
	
             v_fmac_f32 v167, v2, v33 
             
	;;#ASMEND
	;; [unrolled: 5-line block ×16, first 2 shown]
	ds_load_b128 v[2:5], v180 offset:2560
	s_waitcnt lgkmcnt(1)
	;;#ASMSTART
	
             v_fmac_f32 v132, v193, v28 
             
	;;#ASMEND
	;;#ASMSTART
	
             v_fmac_f32 v135, v193, v29 
             
	;;#ASMEND
	;; [unrolled: 5-line block ×16, first 2 shown]
	ds_load_b128 v[28:31], v181 offset:18944
	;;#ASMSTART
	
             v_fmac_f32 v130, v193, v32 
             
	;;#ASMEND
	;;#ASMSTART
	
             v_fmac_f32 v131, v193, v33 
             
	;;#ASMEND
	;; [unrolled: 5-line block ×16, first 2 shown]
	ds_load_b128 v[32:35], v181 offset:19200
	ds_load_b128 v[193:196], v180 offset:2816
	s_waitcnt lgkmcnt(2)
	;;#ASMSTART
	
             v_fmac_f32 v178, v2, v28 
             
	;;#ASMEND
	;;#ASMSTART
	
             v_fmac_f32 v179, v2, v29 
             
	;;#ASMEND
	;; [unrolled: 5-line block ×16, first 2 shown]
	s_waitcnt lgkmcnt(1)
	;;#ASMSTART
	
             v_fmac_f32 v166, v2, v32 
             
	;;#ASMEND
	;;#ASMSTART
	
             v_fmac_f32 v167, v2, v33 
             
	;;#ASMEND
	;; [unrolled: 5-line block ×16, first 2 shown]
	ds_load_b128 v[2:5], v180 offset:3072
	s_waitcnt lgkmcnt(1)
	;;#ASMSTART
	
             v_fmac_f32 v132, v193, v28 
             
	;;#ASMEND
	;;#ASMSTART
	
             v_fmac_f32 v135, v193, v29 
             
	;;#ASMEND
	;; [unrolled: 5-line block ×16, first 2 shown]
	ds_load_b128 v[28:31], v181 offset:19456
	;;#ASMSTART
	
             v_fmac_f32 v130, v193, v32 
             
	;;#ASMEND
	;;#ASMSTART
	
             v_fmac_f32 v131, v193, v33 
             
	;;#ASMEND
	;; [unrolled: 5-line block ×16, first 2 shown]
	ds_load_b128 v[32:35], v181 offset:19712
	ds_load_b128 v[193:196], v180 offset:3328
	s_waitcnt lgkmcnt(2)
	;;#ASMSTART
	
             v_fmac_f32 v178, v2, v28 
             
	;;#ASMEND
	;;#ASMSTART
	
             v_fmac_f32 v179, v2, v29 
             
	;;#ASMEND
	;; [unrolled: 5-line block ×16, first 2 shown]
	s_waitcnt lgkmcnt(1)
	;;#ASMSTART
	
             v_fmac_f32 v166, v2, v32 
             
	;;#ASMEND
	;;#ASMSTART
	
             v_fmac_f32 v167, v2, v33 
             
	;;#ASMEND
	;; [unrolled: 5-line block ×16, first 2 shown]
	ds_load_b128 v[2:5], v180 offset:3584
	s_waitcnt lgkmcnt(1)
	;;#ASMSTART
	
             v_fmac_f32 v132, v193, v28 
             
	;;#ASMEND
	;;#ASMSTART
	
             v_fmac_f32 v135, v193, v29 
             
	;;#ASMEND
	;; [unrolled: 5-line block ×16, first 2 shown]
	ds_load_b128 v[28:31], v181 offset:19968
	;;#ASMSTART
	
             v_fmac_f32 v130, v193, v32 
             
	;;#ASMEND
	;;#ASMSTART
	
             v_fmac_f32 v131, v193, v33 
             
	;;#ASMEND
	;; [unrolled: 5-line block ×16, first 2 shown]
	ds_load_b128 v[32:35], v181 offset:20224
	ds_load_b128 v[193:196], v180 offset:3840
	s_waitcnt lgkmcnt(2)
	;;#ASMSTART
	
             v_fmac_f32 v178, v2, v28 
             
	;;#ASMEND
	;;#ASMSTART
	
             v_fmac_f32 v179, v2, v29 
             
	;;#ASMEND
	;;#ASMSTART
	
             v_fmac_f32 v176, v2, v30 
             
	;;#ASMEND
	;;#ASMSTART
	
             v_fmac_f32 v177, v2, v31 
             
	;;#ASMEND
	;;#ASMSTART
	
             v_fmac_f32 v163, v3, v28 
             
	;;#ASMEND
	;;#ASMSTART
	
             v_fmac_f32 v162, v3, v29 
             
	;;#ASMEND
	;;#ASMSTART
	
             v_fmac_f32 v161, v3, v30 
             
	;;#ASMEND
	;;#ASMSTART
	
             v_fmac_f32 v160, v3, v31 
             
	;;#ASMEND
	;;#ASMSTART
	
             v_fmac_f32 v149, v4, v28 
             
	;;#ASMEND
	;;#ASMSTART
	
             v_fmac_f32 v148, v4, v29 
             
	;;#ASMEND
	;;#ASMSTART
	
             v_fmac_f32 v51, v4, v30 
             
	;;#ASMEND
	;;#ASMSTART
	
             v_fmac_f32 v50, v4, v31 
             
	;;#ASMEND
	;;#ASMSTART
	
             v_fmac_f32 v147, v5, v28 
             
	;;#ASMEND
	;;#ASMSTART
	
             v_fmac_f32 v146, v5, v29 
             
	;;#ASMEND
	;;#ASMSTART
	
             v_fmac_f32 v145, v5, v30 
             
	;;#ASMEND
	;;#ASMSTART
	
             v_fmac_f32 v144, v5, v31 
             
	;;#ASMEND
	s_waitcnt lgkmcnt(1)
	;;#ASMSTART
	
             v_fmac_f32 v166, v2, v32 
             
	;;#ASMEND
	;;#ASMSTART
	
             v_fmac_f32 v167, v2, v33 
             
	;;#ASMEND
	;; [unrolled: 5-line block ×16, first 2 shown]
	ds_load_b128 v[2:5], v180 offset:4096
	s_waitcnt lgkmcnt(1)
	;;#ASMSTART
	
             v_fmac_f32 v132, v193, v28 
             
	;;#ASMEND
	;;#ASMSTART
	
             v_fmac_f32 v135, v193, v29 
             
	;;#ASMEND
	;; [unrolled: 5-line block ×16, first 2 shown]
	ds_load_b128 v[28:31], v181 offset:20480
	;;#ASMSTART
	
             v_fmac_f32 v130, v193, v32 
             
	;;#ASMEND
	;;#ASMSTART
	
             v_fmac_f32 v131, v193, v33 
             
	;;#ASMEND
	;; [unrolled: 5-line block ×16, first 2 shown]
	ds_load_b128 v[32:35], v181 offset:20736
	ds_load_b128 v[193:196], v180 offset:4352
	s_waitcnt lgkmcnt(2)
	;;#ASMSTART
	
             v_fmac_f32 v178, v2, v28 
             
	;;#ASMEND
	;;#ASMSTART
	
             v_fmac_f32 v179, v2, v29 
             
	;;#ASMEND
	;; [unrolled: 5-line block ×16, first 2 shown]
	s_waitcnt lgkmcnt(1)
	;;#ASMSTART
	
             v_fmac_f32 v166, v2, v32 
             
	;;#ASMEND
	;;#ASMSTART
	
             v_fmac_f32 v167, v2, v33 
             
	;;#ASMEND
	;; [unrolled: 5-line block ×16, first 2 shown]
	ds_load_b128 v[2:5], v180 offset:4608
	s_waitcnt lgkmcnt(1)
	;;#ASMSTART
	
             v_fmac_f32 v132, v193, v28 
             
	;;#ASMEND
	;;#ASMSTART
	
             v_fmac_f32 v135, v193, v29 
             
	;;#ASMEND
	;; [unrolled: 5-line block ×16, first 2 shown]
	ds_load_b128 v[28:31], v181 offset:20992
	;;#ASMSTART
	
             v_fmac_f32 v130, v193, v32 
             
	;;#ASMEND
	;;#ASMSTART
	
             v_fmac_f32 v131, v193, v33 
             
	;;#ASMEND
	;;#ASMSTART
	
             v_fmac_f32 v39, v193, v34 
             
	;;#ASMEND
	;;#ASMSTART
	
             v_fmac_f32 v129, v193, v35 
             
	;;#ASMEND
	;;#ASMSTART
	
             v_fmac_f32 v86, v194, v32 
             
	;;#ASMEND
	;;#ASMSTART
	
             v_fmac_f32 v87, v194, v33 
             
	;;#ASMEND
	;;#ASMSTART
	
             v_fmac_f32 v84, v194, v34 
             
	;;#ASMEND
	;;#ASMSTART
	
             v_fmac_f32 v85, v194, v35 
             
	;;#ASMEND
	;;#ASMSTART
	
             v_fmac_f32 v102, v195, v32 
             
	;;#ASMEND
	;;#ASMSTART
	
             v_fmac_f32 v103, v195, v33 
             
	;;#ASMEND
	;;#ASMSTART
	
             v_fmac_f32 v100, v195, v34 
             
	;;#ASMEND
	;;#ASMSTART
	
             v_fmac_f32 v101, v195, v35 
             
	;;#ASMEND
	;;#ASMSTART
	
             v_fmac_f32 v119, v196, v32 
             
	;;#ASMEND
	;;#ASMSTART
	
             v_fmac_f32 v117, v196, v33 
             
	;;#ASMEND
	;;#ASMSTART
	
             v_fmac_f32 v118, v196, v34 
             
	;;#ASMEND
	;;#ASMSTART
	
             v_fmac_f32 v128, v196, v35 
             
	;;#ASMEND
	ds_load_b128 v[32:35], v181 offset:21248
	ds_load_b128 v[193:196], v180 offset:4864
	s_waitcnt lgkmcnt(2)
	;;#ASMSTART
	
             v_fmac_f32 v178, v2, v28 
             
	;;#ASMEND
	;;#ASMSTART
	
             v_fmac_f32 v179, v2, v29 
             
	;;#ASMEND
	;; [unrolled: 5-line block ×16, first 2 shown]
	s_waitcnt lgkmcnt(1)
	;;#ASMSTART
	
             v_fmac_f32 v166, v2, v32 
             
	;;#ASMEND
	;;#ASMSTART
	
             v_fmac_f32 v167, v2, v33 
             
	;;#ASMEND
	;; [unrolled: 5-line block ×16, first 2 shown]
	ds_load_b128 v[2:5], v180 offset:5120
	s_waitcnt lgkmcnt(1)
	;;#ASMSTART
	
             v_fmac_f32 v132, v193, v28 
             
	;;#ASMEND
	;;#ASMSTART
	
             v_fmac_f32 v135, v193, v29 
             
	;;#ASMEND
	;; [unrolled: 5-line block ×16, first 2 shown]
	ds_load_b128 v[28:31], v181 offset:21504
	;;#ASMSTART
	
             v_fmac_f32 v130, v193, v32 
             
	;;#ASMEND
	;;#ASMSTART
	
             v_fmac_f32 v131, v193, v33 
             
	;;#ASMEND
	;;#ASMSTART
	
             v_fmac_f32 v39, v193, v34 
             
	;;#ASMEND
	;;#ASMSTART
	
             v_fmac_f32 v129, v193, v35 
             
	;;#ASMEND
	;;#ASMSTART
	
             v_fmac_f32 v86, v194, v32 
             
	;;#ASMEND
	;;#ASMSTART
	
             v_fmac_f32 v87, v194, v33 
             
	;;#ASMEND
	;;#ASMSTART
	
             v_fmac_f32 v84, v194, v34 
             
	;;#ASMEND
	;;#ASMSTART
	
             v_fmac_f32 v85, v194, v35 
             
	;;#ASMEND
	;;#ASMSTART
	
             v_fmac_f32 v102, v195, v32 
             
	;;#ASMEND
	;;#ASMSTART
	
             v_fmac_f32 v103, v195, v33 
             
	;;#ASMEND
	;;#ASMSTART
	
             v_fmac_f32 v100, v195, v34 
             
	;;#ASMEND
	;;#ASMSTART
	
             v_fmac_f32 v101, v195, v35 
             
	;;#ASMEND
	;;#ASMSTART
	
             v_fmac_f32 v119, v196, v32 
             
	;;#ASMEND
	;;#ASMSTART
	
             v_fmac_f32 v117, v196, v33 
             
	;;#ASMEND
	;;#ASMSTART
	
             v_fmac_f32 v118, v196, v34 
             
	;;#ASMEND
	;;#ASMSTART
	
             v_fmac_f32 v128, v196, v35 
             
	;;#ASMEND
	ds_load_b128 v[32:35], v181 offset:21760
	ds_load_b128 v[193:196], v180 offset:5376
	s_waitcnt lgkmcnt(2)
	;;#ASMSTART
	
             v_fmac_f32 v178, v2, v28 
             
	;;#ASMEND
	;;#ASMSTART
	
             v_fmac_f32 v179, v2, v29 
             
	;;#ASMEND
	;; [unrolled: 5-line block ×16, first 2 shown]
	s_waitcnt lgkmcnt(1)
	;;#ASMSTART
	
             v_fmac_f32 v166, v2, v32 
             
	;;#ASMEND
	;;#ASMSTART
	
             v_fmac_f32 v167, v2, v33 
             
	;;#ASMEND
	;; [unrolled: 5-line block ×16, first 2 shown]
	ds_load_b128 v[2:5], v180 offset:5632
	s_waitcnt lgkmcnt(1)
	;;#ASMSTART
	
             v_fmac_f32 v132, v193, v28 
             
	;;#ASMEND
	;;#ASMSTART
	
             v_fmac_f32 v135, v193, v29 
             
	;;#ASMEND
	;; [unrolled: 5-line block ×16, first 2 shown]
	ds_load_b128 v[28:31], v181 offset:22016
	;;#ASMSTART
	
             v_fmac_f32 v130, v193, v32 
             
	;;#ASMEND
	;;#ASMSTART
	
             v_fmac_f32 v131, v193, v33 
             
	;;#ASMEND
	;;#ASMSTART
	
             v_fmac_f32 v39, v193, v34 
             
	;;#ASMEND
	;;#ASMSTART
	
             v_fmac_f32 v129, v193, v35 
             
	;;#ASMEND
	;;#ASMSTART
	
             v_fmac_f32 v86, v194, v32 
             
	;;#ASMEND
	;;#ASMSTART
	
             v_fmac_f32 v87, v194, v33 
             
	;;#ASMEND
	;;#ASMSTART
	
             v_fmac_f32 v84, v194, v34 
             
	;;#ASMEND
	;;#ASMSTART
	
             v_fmac_f32 v85, v194, v35 
             
	;;#ASMEND
	;;#ASMSTART
	
             v_fmac_f32 v102, v195, v32 
             
	;;#ASMEND
	;;#ASMSTART
	
             v_fmac_f32 v103, v195, v33 
             
	;;#ASMEND
	;;#ASMSTART
	
             v_fmac_f32 v100, v195, v34 
             
	;;#ASMEND
	;;#ASMSTART
	
             v_fmac_f32 v101, v195, v35 
             
	;;#ASMEND
	;;#ASMSTART
	
             v_fmac_f32 v119, v196, v32 
             
	;;#ASMEND
	;;#ASMSTART
	
             v_fmac_f32 v117, v196, v33 
             
	;;#ASMEND
	;;#ASMSTART
	
             v_fmac_f32 v118, v196, v34 
             
	;;#ASMEND
	;;#ASMSTART
	
             v_fmac_f32 v128, v196, v35 
             
	;;#ASMEND
	ds_load_b128 v[32:35], v181 offset:22272
	ds_load_b128 v[193:196], v180 offset:5888
	s_waitcnt lgkmcnt(2)
	;;#ASMSTART
	
             v_fmac_f32 v178, v2, v28 
             
	;;#ASMEND
	;;#ASMSTART
	
             v_fmac_f32 v179, v2, v29 
             
	;;#ASMEND
	;; [unrolled: 5-line block ×16, first 2 shown]
	s_waitcnt lgkmcnt(1)
	;;#ASMSTART
	
             v_fmac_f32 v166, v2, v32 
             
	;;#ASMEND
	;;#ASMSTART
	
             v_fmac_f32 v167, v2, v33 
             
	;;#ASMEND
	;;#ASMSTART
	
             v_fmac_f32 v164, v2, v34 
             
	;;#ASMEND
	;;#ASMSTART
	
             v_fmac_f32 v165, v2, v35 
             
	;;#ASMEND
	;;#ASMSTART
	
             v_fmac_f32 v150, v3, v32 
             
	;;#ASMEND
	;;#ASMSTART
	
             v_fmac_f32 v151, v3, v33 
             
	;;#ASMEND
	;;#ASMSTART
	
             v_fmac_f32 v70, v3, v34 
             
	;;#ASMEND
	;;#ASMSTART
	
             v_fmac_f32 v71, v3, v35 
             
	;;#ASMEND
	;;#ASMSTART
	
             v_fmac_f32 v66, v4, v32 
             
	;;#ASMEND
	;;#ASMSTART
	
             v_fmac_f32 v67, v4, v33 
             
	;;#ASMEND
	;;#ASMSTART
	
             v_fmac_f32 v64, v4, v34 
             
	;;#ASMEND
	;;#ASMSTART
	
             v_fmac_f32 v65, v4, v35 
             
	;;#ASMEND
	;;#ASMSTART
	
             v_fmac_f32 v83, v5, v32 
             
	;;#ASMEND
	;;#ASMSTART
	
             v_fmac_f32 v82, v5, v33 
             
	;;#ASMEND
	;;#ASMSTART
	
             v_fmac_f32 v80, v5, v34 
             
	;;#ASMEND
	;;#ASMSTART
	
             v_fmac_f32 v81, v5, v35 
             
	;;#ASMEND
	ds_load_b128 v[2:5], v180 offset:6144
	s_waitcnt lgkmcnt(1)
	;;#ASMSTART
	
             v_fmac_f32 v132, v193, v28 
             
	;;#ASMEND
	;;#ASMSTART
	
             v_fmac_f32 v135, v193, v29 
             
	;;#ASMEND
	;; [unrolled: 5-line block ×16, first 2 shown]
	ds_load_b128 v[28:31], v181 offset:22528
	;;#ASMSTART
	
             v_fmac_f32 v130, v193, v32 
             
	;;#ASMEND
	;;#ASMSTART
	
             v_fmac_f32 v131, v193, v33 
             
	;;#ASMEND
	;; [unrolled: 5-line block ×16, first 2 shown]
	ds_load_b128 v[32:35], v181 offset:22784
	ds_load_b128 v[193:196], v180 offset:6400
	s_waitcnt lgkmcnt(2)
	;;#ASMSTART
	
             v_fmac_f32 v178, v2, v28 
             
	;;#ASMEND
	;;#ASMSTART
	
             v_fmac_f32 v179, v2, v29 
             
	;;#ASMEND
	;; [unrolled: 5-line block ×16, first 2 shown]
	s_waitcnt lgkmcnt(1)
	;;#ASMSTART
	
             v_fmac_f32 v166, v2, v32 
             
	;;#ASMEND
	;;#ASMSTART
	
             v_fmac_f32 v167, v2, v33 
             
	;;#ASMEND
	;; [unrolled: 5-line block ×16, first 2 shown]
	ds_load_b128 v[2:5], v180 offset:6656
	s_waitcnt lgkmcnt(1)
	;;#ASMSTART
	
             v_fmac_f32 v132, v193, v28 
             
	;;#ASMEND
	;;#ASMSTART
	
             v_fmac_f32 v135, v193, v29 
             
	;;#ASMEND
	;; [unrolled: 5-line block ×16, first 2 shown]
	ds_load_b128 v[28:31], v181 offset:23040
	;;#ASMSTART
	
             v_fmac_f32 v130, v193, v32 
             
	;;#ASMEND
	;;#ASMSTART
	
             v_fmac_f32 v131, v193, v33 
             
	;;#ASMEND
	;; [unrolled: 5-line block ×16, first 2 shown]
	ds_load_b128 v[32:35], v181 offset:23296
	ds_load_b128 v[193:196], v180 offset:6912
	s_waitcnt lgkmcnt(2)
	;;#ASMSTART
	
             v_fmac_f32 v178, v2, v28 
             
	;;#ASMEND
	;;#ASMSTART
	
             v_fmac_f32 v179, v2, v29 
             
	;;#ASMEND
	;; [unrolled: 5-line block ×16, first 2 shown]
	s_waitcnt lgkmcnt(1)
	;;#ASMSTART
	
             v_fmac_f32 v166, v2, v32 
             
	;;#ASMEND
	;;#ASMSTART
	
             v_fmac_f32 v167, v2, v33 
             
	;;#ASMEND
	;; [unrolled: 5-line block ×16, first 2 shown]
	ds_load_b128 v[2:5], v180 offset:7168
	s_waitcnt lgkmcnt(1)
	;;#ASMSTART
	
             v_fmac_f32 v132, v193, v28 
             
	;;#ASMEND
	;;#ASMSTART
	
             v_fmac_f32 v135, v193, v29 
             
	;;#ASMEND
	;; [unrolled: 5-line block ×16, first 2 shown]
	ds_load_b128 v[28:31], v181 offset:23552
	;;#ASMSTART
	
             v_fmac_f32 v130, v193, v32 
             
	;;#ASMEND
	;;#ASMSTART
	
             v_fmac_f32 v131, v193, v33 
             
	;;#ASMEND
	;; [unrolled: 5-line block ×16, first 2 shown]
	ds_load_b128 v[32:35], v181 offset:23808
	ds_load_b128 v[193:196], v180 offset:7424
	s_waitcnt lgkmcnt(2)
	;;#ASMSTART
	
             v_fmac_f32 v178, v2, v28 
             
	;;#ASMEND
	;;#ASMSTART
	
             v_fmac_f32 v179, v2, v29 
             
	;;#ASMEND
	;; [unrolled: 5-line block ×16, first 2 shown]
	s_waitcnt lgkmcnt(1)
	;;#ASMSTART
	
             v_fmac_f32 v166, v2, v32 
             
	;;#ASMEND
	;;#ASMSTART
	
             v_fmac_f32 v167, v2, v33 
             
	;;#ASMEND
	;; [unrolled: 5-line block ×16, first 2 shown]
	ds_load_b128 v[2:5], v180 offset:7680
	s_waitcnt lgkmcnt(1)
	;;#ASMSTART
	
             v_fmac_f32 v132, v193, v28 
             
	;;#ASMEND
	;;#ASMSTART
	
             v_fmac_f32 v135, v193, v29 
             
	;;#ASMEND
	;; [unrolled: 5-line block ×16, first 2 shown]
	ds_load_b128 v[28:31], v181 offset:24064
	;;#ASMSTART
	
             v_fmac_f32 v130, v193, v32 
             
	;;#ASMEND
	;;#ASMSTART
	
             v_fmac_f32 v131, v193, v33 
             
	;;#ASMEND
	;; [unrolled: 5-line block ×16, first 2 shown]
	ds_load_b128 v[32:35], v181 offset:24320
	ds_load_b128 v[8:11], v180 offset:7936
	s_waitcnt lgkmcnt(2)
	;;#ASMSTART
	
             v_fmac_f32 v178, v2, v28 
             
	;;#ASMEND
	;;#ASMSTART
	
             v_fmac_f32 v179, v2, v29 
             
	;;#ASMEND
	;; [unrolled: 5-line block ×16, first 2 shown]
	s_waitcnt lgkmcnt(1)
	;;#ASMSTART
	
             v_fmac_f32 v166, v2, v32 
             
	;;#ASMEND
	;;#ASMSTART
	
             v_fmac_f32 v167, v2, v33 
             
	;;#ASMEND
	;; [unrolled: 5-line block ×16, first 2 shown]
	s_waitcnt lgkmcnt(0)
	;;#ASMSTART
	
             v_fmac_f32 v132, v8, v28 
             
	;;#ASMEND
	;;#ASMSTART
	
             v_fmac_f32 v135, v8, v29 
             
	;;#ASMEND
	;; [unrolled: 5-line block ×32, first 2 shown]
	ds_store_2addr_stride64_b32 v183, v27, v1 offset0:2 offset1:4
	ds_store_2addr_stride64_b32 v183, v0, v25 offset0:6 offset1:8
	;; [unrolled: 1-line block ×7, first 2 shown]
	ds_store_b32 v183, v22 offset:3584
	ds_store_b32 v192, v36 offset:3584
	s_waitcnt lgkmcnt(0)
	s_barrier
	ds_load_b128 v[0:3], v180 offset:8192
	ds_load_b128 v[8:11], v181 offset:24576
	;; [unrolled: 1-line block ×4, first 2 shown]
	s_waitcnt lgkmcnt(2)
	;;#ASMSTART
	
             v_fmac_f32 v178, v0, v8 
             
	;;#ASMEND
	;;#ASMSTART
	
             v_fmac_f32 v179, v0, v9 
             
	;;#ASMEND
	;; [unrolled: 5-line block ×16, first 2 shown]
	s_waitcnt lgkmcnt(1)
	;;#ASMSTART
	
             v_fmac_f32 v166, v0, v16 
             
	;;#ASMEND
	;;#ASMSTART
	
             v_fmac_f32 v167, v0, v17 
             
	;;#ASMEND
	;; [unrolled: 5-line block ×16, first 2 shown]
	ds_load_b128 v[0:3], v180 offset:8704
	s_waitcnt lgkmcnt(1)
	;;#ASMSTART
	
             v_fmac_f32 v132, v22, v8 
             
	;;#ASMEND
	;;#ASMSTART
	
             v_fmac_f32 v135, v22, v9 
             
	;;#ASMEND
	;; [unrolled: 5-line block ×16, first 2 shown]
	ds_load_b128 v[8:11], v181 offset:25088
	;;#ASMSTART
	
             v_fmac_f32 v130, v22, v16 
             
	;;#ASMEND
	;;#ASMSTART
	
             v_fmac_f32 v131, v22, v17 
             
	;;#ASMEND
	;; [unrolled: 5-line block ×16, first 2 shown]
	ds_load_b128 v[16:19], v181 offset:25344
	ds_load_b128 v[22:25], v180 offset:8960
	s_waitcnt lgkmcnt(2)
	;;#ASMSTART
	
             v_fmac_f32 v178, v0, v8 
             
	;;#ASMEND
	;;#ASMSTART
	
             v_fmac_f32 v179, v0, v9 
             
	;;#ASMEND
	;; [unrolled: 5-line block ×16, first 2 shown]
	s_waitcnt lgkmcnt(1)
	;;#ASMSTART
	
             v_fmac_f32 v166, v0, v16 
             
	;;#ASMEND
	;;#ASMSTART
	
             v_fmac_f32 v167, v0, v17 
             
	;;#ASMEND
	;; [unrolled: 5-line block ×16, first 2 shown]
	ds_load_b128 v[0:3], v180 offset:9216
	s_waitcnt lgkmcnt(1)
	;;#ASMSTART
	
             v_fmac_f32 v132, v22, v8 
             
	;;#ASMEND
	;;#ASMSTART
	
             v_fmac_f32 v135, v22, v9 
             
	;;#ASMEND
	;; [unrolled: 5-line block ×16, first 2 shown]
	ds_load_b128 v[8:11], v181 offset:25600
	;;#ASMSTART
	
             v_fmac_f32 v130, v22, v16 
             
	;;#ASMEND
	;;#ASMSTART
	
             v_fmac_f32 v131, v22, v17 
             
	;;#ASMEND
	;; [unrolled: 5-line block ×16, first 2 shown]
	ds_load_b128 v[16:19], v181 offset:25856
	ds_load_b128 v[22:25], v180 offset:9472
	s_waitcnt lgkmcnt(2)
	;;#ASMSTART
	
             v_fmac_f32 v178, v0, v8 
             
	;;#ASMEND
	;;#ASMSTART
	
             v_fmac_f32 v179, v0, v9 
             
	;;#ASMEND
	;; [unrolled: 5-line block ×16, first 2 shown]
	s_waitcnt lgkmcnt(1)
	;;#ASMSTART
	
             v_fmac_f32 v166, v0, v16 
             
	;;#ASMEND
	;;#ASMSTART
	
             v_fmac_f32 v167, v0, v17 
             
	;;#ASMEND
	;; [unrolled: 5-line block ×16, first 2 shown]
	ds_load_b128 v[0:3], v180 offset:9728
	s_waitcnt lgkmcnt(1)
	;;#ASMSTART
	
             v_fmac_f32 v132, v22, v8 
             
	;;#ASMEND
	;;#ASMSTART
	
             v_fmac_f32 v135, v22, v9 
             
	;;#ASMEND
	;; [unrolled: 5-line block ×16, first 2 shown]
	ds_load_b128 v[8:11], v181 offset:26112
	;;#ASMSTART
	
             v_fmac_f32 v130, v22, v16 
             
	;;#ASMEND
	;;#ASMSTART
	
             v_fmac_f32 v131, v22, v17 
             
	;;#ASMEND
	;; [unrolled: 5-line block ×16, first 2 shown]
	ds_load_b128 v[16:19], v181 offset:26368
	ds_load_b128 v[22:25], v180 offset:9984
	s_waitcnt lgkmcnt(2)
	;;#ASMSTART
	
             v_fmac_f32 v178, v0, v8 
             
	;;#ASMEND
	;;#ASMSTART
	
             v_fmac_f32 v179, v0, v9 
             
	;;#ASMEND
	;; [unrolled: 5-line block ×16, first 2 shown]
	s_waitcnt lgkmcnt(1)
	;;#ASMSTART
	
             v_fmac_f32 v166, v0, v16 
             
	;;#ASMEND
	;;#ASMSTART
	
             v_fmac_f32 v167, v0, v17 
             
	;;#ASMEND
	;;#ASMSTART
	
             v_fmac_f32 v164, v0, v18 
             
	;;#ASMEND
	;;#ASMSTART
	
             v_fmac_f32 v165, v0, v19 
             
	;;#ASMEND
	;;#ASMSTART
	
             v_fmac_f32 v150, v1, v16 
             
	;;#ASMEND
	;;#ASMSTART
	
             v_fmac_f32 v151, v1, v17 
             
	;;#ASMEND
	;;#ASMSTART
	
             v_fmac_f32 v70, v1, v18 
             
	;;#ASMEND
	;;#ASMSTART
	
             v_fmac_f32 v71, v1, v19 
             
	;;#ASMEND
	;;#ASMSTART
	
             v_fmac_f32 v66, v2, v16 
             
	;;#ASMEND
	;;#ASMSTART
	
             v_fmac_f32 v67, v2, v17 
             
	;;#ASMEND
	;;#ASMSTART
	
             v_fmac_f32 v64, v2, v18 
             
	;;#ASMEND
	;;#ASMSTART
	
             v_fmac_f32 v65, v2, v19 
             
	;;#ASMEND
	;;#ASMSTART
	
             v_fmac_f32 v83, v3, v16 
             
	;;#ASMEND
	;;#ASMSTART
	
             v_fmac_f32 v82, v3, v17 
             
	;;#ASMEND
	;;#ASMSTART
	
             v_fmac_f32 v80, v3, v18 
             
	;;#ASMEND
	;;#ASMSTART
	
             v_fmac_f32 v81, v3, v19 
             
	;;#ASMEND
	ds_load_b128 v[0:3], v180 offset:10240
	s_waitcnt lgkmcnt(1)
	;;#ASMSTART
	
             v_fmac_f32 v132, v22, v8 
             
	;;#ASMEND
	;;#ASMSTART
	
             v_fmac_f32 v135, v22, v9 
             
	;;#ASMEND
	;; [unrolled: 5-line block ×16, first 2 shown]
	ds_load_b128 v[8:11], v181 offset:26624
	;;#ASMSTART
	
             v_fmac_f32 v130, v22, v16 
             
	;;#ASMEND
	;;#ASMSTART
	
             v_fmac_f32 v131, v22, v17 
             
	;;#ASMEND
	;; [unrolled: 5-line block ×16, first 2 shown]
	ds_load_b128 v[16:19], v181 offset:26880
	ds_load_b128 v[22:25], v180 offset:10496
	s_waitcnt lgkmcnt(2)
	;;#ASMSTART
	
             v_fmac_f32 v178, v0, v8 
             
	;;#ASMEND
	;;#ASMSTART
	
             v_fmac_f32 v179, v0, v9 
             
	;;#ASMEND
	;; [unrolled: 5-line block ×16, first 2 shown]
	s_waitcnt lgkmcnt(1)
	;;#ASMSTART
	
             v_fmac_f32 v166, v0, v16 
             
	;;#ASMEND
	;;#ASMSTART
	
             v_fmac_f32 v167, v0, v17 
             
	;;#ASMEND
	;; [unrolled: 5-line block ×16, first 2 shown]
	ds_load_b128 v[0:3], v180 offset:10752
	s_waitcnt lgkmcnt(1)
	;;#ASMSTART
	
             v_fmac_f32 v132, v22, v8 
             
	;;#ASMEND
	;;#ASMSTART
	
             v_fmac_f32 v135, v22, v9 
             
	;;#ASMEND
	;; [unrolled: 5-line block ×16, first 2 shown]
	ds_load_b128 v[8:11], v181 offset:27136
	;;#ASMSTART
	
             v_fmac_f32 v130, v22, v16 
             
	;;#ASMEND
	;;#ASMSTART
	
             v_fmac_f32 v131, v22, v17 
             
	;;#ASMEND
	;; [unrolled: 5-line block ×16, first 2 shown]
	ds_load_b128 v[16:19], v181 offset:27392
	ds_load_b128 v[22:25], v180 offset:11008
	s_waitcnt lgkmcnt(2)
	;;#ASMSTART
	
             v_fmac_f32 v178, v0, v8 
             
	;;#ASMEND
	;;#ASMSTART
	
             v_fmac_f32 v179, v0, v9 
             
	;;#ASMEND
	;; [unrolled: 5-line block ×16, first 2 shown]
	s_waitcnt lgkmcnt(1)
	;;#ASMSTART
	
             v_fmac_f32 v166, v0, v16 
             
	;;#ASMEND
	;;#ASMSTART
	
             v_fmac_f32 v167, v0, v17 
             
	;;#ASMEND
	;; [unrolled: 5-line block ×16, first 2 shown]
	ds_load_b128 v[0:3], v180 offset:11264
	s_waitcnt lgkmcnt(1)
	;;#ASMSTART
	
             v_fmac_f32 v132, v22, v8 
             
	;;#ASMEND
	;;#ASMSTART
	
             v_fmac_f32 v135, v22, v9 
             
	;;#ASMEND
	;; [unrolled: 5-line block ×16, first 2 shown]
	ds_load_b128 v[8:11], v181 offset:27648
	;;#ASMSTART
	
             v_fmac_f32 v130, v22, v16 
             
	;;#ASMEND
	;;#ASMSTART
	
             v_fmac_f32 v131, v22, v17 
             
	;;#ASMEND
	;; [unrolled: 5-line block ×16, first 2 shown]
	ds_load_b128 v[16:19], v181 offset:27904
	ds_load_b128 v[22:25], v180 offset:11520
	s_waitcnt lgkmcnt(2)
	;;#ASMSTART
	
             v_fmac_f32 v178, v0, v8 
             
	;;#ASMEND
	;;#ASMSTART
	
             v_fmac_f32 v179, v0, v9 
             
	;;#ASMEND
	;; [unrolled: 5-line block ×16, first 2 shown]
	s_waitcnt lgkmcnt(1)
	;;#ASMSTART
	
             v_fmac_f32 v166, v0, v16 
             
	;;#ASMEND
	;;#ASMSTART
	
             v_fmac_f32 v167, v0, v17 
             
	;;#ASMEND
	;; [unrolled: 5-line block ×16, first 2 shown]
	ds_load_b128 v[0:3], v180 offset:11776
	s_waitcnt lgkmcnt(1)
	;;#ASMSTART
	
             v_fmac_f32 v132, v22, v8 
             
	;;#ASMEND
	;;#ASMSTART
	
             v_fmac_f32 v135, v22, v9 
             
	;;#ASMEND
	;;#ASMSTART
	
             v_fmac_f32 v134, v22, v10 
             
	;;#ASMEND
	;;#ASMSTART
	
             v_fmac_f32 v133, v22, v11 
             
	;;#ASMEND
	;;#ASMSTART
	
             v_fmac_f32 v55, v23, v8 
             
	;;#ASMEND
	;;#ASMSTART
	
             v_fmac_f32 v54, v23, v9 
             
	;;#ASMEND
	;;#ASMSTART
	
             v_fmac_f32 v53, v23, v10 
             
	;;#ASMEND
	;;#ASMSTART
	
             v_fmac_f32 v52, v23, v11 
             
	;;#ASMEND
	;;#ASMSTART
	
             v_fmac_f32 v99, v24, v8 
             
	;;#ASMEND
	;;#ASMSTART
	
             v_fmac_f32 v98, v24, v9 
             
	;;#ASMEND
	;;#ASMSTART
	
             v_fmac_f32 v97, v24, v10 
             
	;;#ASMEND
	;;#ASMSTART
	
             v_fmac_f32 v96, v24, v11 
             
	;;#ASMEND
	;;#ASMSTART
	
             v_fmac_f32 v115, v25, v8 
             
	;;#ASMEND
	;;#ASMSTART
	
             v_fmac_f32 v114, v25, v9 
             
	;;#ASMEND
	;;#ASMSTART
	
             v_fmac_f32 v112, v25, v10 
             
	;;#ASMEND
	;;#ASMSTART
	
             v_fmac_f32 v113, v25, v11 
             
	;;#ASMEND
	ds_load_b128 v[8:11], v181 offset:28160
	;;#ASMSTART
	
             v_fmac_f32 v130, v22, v16 
             
	;;#ASMEND
	;;#ASMSTART
	
             v_fmac_f32 v131, v22, v17 
             
	;;#ASMEND
	;;#ASMSTART
	
             v_fmac_f32 v39, v22, v18 
             
	;;#ASMEND
	;;#ASMSTART
	
             v_fmac_f32 v129, v22, v19 
             
	;;#ASMEND
	;;#ASMSTART
	
             v_fmac_f32 v86, v23, v16 
             
	;;#ASMEND
	;;#ASMSTART
	
             v_fmac_f32 v87, v23, v17 
             
	;;#ASMEND
	;;#ASMSTART
	
             v_fmac_f32 v84, v23, v18 
             
	;;#ASMEND
	;;#ASMSTART
	
             v_fmac_f32 v85, v23, v19 
             
	;;#ASMEND
	;;#ASMSTART
	
             v_fmac_f32 v102, v24, v16 
             
	;;#ASMEND
	;;#ASMSTART
	
             v_fmac_f32 v103, v24, v17 
             
	;;#ASMEND
	;;#ASMSTART
	
             v_fmac_f32 v100, v24, v18 
             
	;;#ASMEND
	;;#ASMSTART
	
             v_fmac_f32 v101, v24, v19 
             
	;;#ASMEND
	;;#ASMSTART
	
             v_fmac_f32 v119, v25, v16 
             
	;;#ASMEND
	;;#ASMSTART
	
             v_fmac_f32 v117, v25, v17 
             
	;;#ASMEND
	;;#ASMSTART
	
             v_fmac_f32 v118, v25, v18 
             
	;;#ASMEND
	;;#ASMSTART
	
             v_fmac_f32 v128, v25, v19 
             
	;;#ASMEND
	ds_load_b128 v[16:19], v181 offset:28416
	ds_load_b128 v[22:25], v180 offset:12032
	s_waitcnt lgkmcnt(2)
	;;#ASMSTART
	
             v_fmac_f32 v178, v0, v8 
             
	;;#ASMEND
	;;#ASMSTART
	
             v_fmac_f32 v179, v0, v9 
             
	;;#ASMEND
	;; [unrolled: 5-line block ×16, first 2 shown]
	s_waitcnt lgkmcnt(1)
	;;#ASMSTART
	
             v_fmac_f32 v166, v0, v16 
             
	;;#ASMEND
	;;#ASMSTART
	
             v_fmac_f32 v167, v0, v17 
             
	;;#ASMEND
	;; [unrolled: 5-line block ×16, first 2 shown]
	ds_load_b128 v[0:3], v180 offset:12288
	s_waitcnt lgkmcnt(1)
	;;#ASMSTART
	
             v_fmac_f32 v132, v22, v8 
             
	;;#ASMEND
	;;#ASMSTART
	
             v_fmac_f32 v135, v22, v9 
             
	;;#ASMEND
	;; [unrolled: 5-line block ×16, first 2 shown]
	ds_load_b128 v[8:11], v181 offset:28672
	;;#ASMSTART
	
             v_fmac_f32 v130, v22, v16 
             
	;;#ASMEND
	;;#ASMSTART
	
             v_fmac_f32 v131, v22, v17 
             
	;;#ASMEND
	;; [unrolled: 5-line block ×16, first 2 shown]
	ds_load_b128 v[16:19], v181 offset:28928
	ds_load_b128 v[22:25], v180 offset:12544
	s_waitcnt lgkmcnt(2)
	;;#ASMSTART
	
             v_fmac_f32 v178, v0, v8 
             
	;;#ASMEND
	;;#ASMSTART
	
             v_fmac_f32 v179, v0, v9 
             
	;;#ASMEND
	;; [unrolled: 5-line block ×16, first 2 shown]
	s_waitcnt lgkmcnt(1)
	;;#ASMSTART
	
             v_fmac_f32 v166, v0, v16 
             
	;;#ASMEND
	;;#ASMSTART
	
             v_fmac_f32 v167, v0, v17 
             
	;;#ASMEND
	;; [unrolled: 5-line block ×16, first 2 shown]
	ds_load_b128 v[0:3], v180 offset:12800
	s_waitcnt lgkmcnt(1)
	;;#ASMSTART
	
             v_fmac_f32 v132, v22, v8 
             
	;;#ASMEND
	;;#ASMSTART
	
             v_fmac_f32 v135, v22, v9 
             
	;;#ASMEND
	;;#ASMSTART
	
             v_fmac_f32 v134, v22, v10 
             
	;;#ASMEND
	;;#ASMSTART
	
             v_fmac_f32 v133, v22, v11 
             
	;;#ASMEND
	;;#ASMSTART
	
             v_fmac_f32 v55, v23, v8 
             
	;;#ASMEND
	;;#ASMSTART
	
             v_fmac_f32 v54, v23, v9 
             
	;;#ASMEND
	;;#ASMSTART
	
             v_fmac_f32 v53, v23, v10 
             
	;;#ASMEND
	;;#ASMSTART
	
             v_fmac_f32 v52, v23, v11 
             
	;;#ASMEND
	;;#ASMSTART
	
             v_fmac_f32 v99, v24, v8 
             
	;;#ASMEND
	;;#ASMSTART
	
             v_fmac_f32 v98, v24, v9 
             
	;;#ASMEND
	;;#ASMSTART
	
             v_fmac_f32 v97, v24, v10 
             
	;;#ASMEND
	;;#ASMSTART
	
             v_fmac_f32 v96, v24, v11 
             
	;;#ASMEND
	;;#ASMSTART
	
             v_fmac_f32 v115, v25, v8 
             
	;;#ASMEND
	;;#ASMSTART
	
             v_fmac_f32 v114, v25, v9 
             
	;;#ASMEND
	;;#ASMSTART
	
             v_fmac_f32 v112, v25, v10 
             
	;;#ASMEND
	;;#ASMSTART
	
             v_fmac_f32 v113, v25, v11 
             
	;;#ASMEND
	ds_load_b128 v[8:11], v181 offset:29184
	;;#ASMSTART
	
             v_fmac_f32 v130, v22, v16 
             
	;;#ASMEND
	;;#ASMSTART
	
             v_fmac_f32 v131, v22, v17 
             
	;;#ASMEND
	;;#ASMSTART
	
             v_fmac_f32 v39, v22, v18 
             
	;;#ASMEND
	;;#ASMSTART
	
             v_fmac_f32 v129, v22, v19 
             
	;;#ASMEND
	;;#ASMSTART
	
             v_fmac_f32 v86, v23, v16 
             
	;;#ASMEND
	;;#ASMSTART
	
             v_fmac_f32 v87, v23, v17 
             
	;;#ASMEND
	;;#ASMSTART
	
             v_fmac_f32 v84, v23, v18 
             
	;;#ASMEND
	;;#ASMSTART
	
             v_fmac_f32 v85, v23, v19 
             
	;;#ASMEND
	;;#ASMSTART
	
             v_fmac_f32 v102, v24, v16 
             
	;;#ASMEND
	;;#ASMSTART
	
             v_fmac_f32 v103, v24, v17 
             
	;;#ASMEND
	;;#ASMSTART
	
             v_fmac_f32 v100, v24, v18 
             
	;;#ASMEND
	;;#ASMSTART
	
             v_fmac_f32 v101, v24, v19 
             
	;;#ASMEND
	;;#ASMSTART
	
             v_fmac_f32 v119, v25, v16 
             
	;;#ASMEND
	;;#ASMSTART
	
             v_fmac_f32 v117, v25, v17 
             
	;;#ASMEND
	;;#ASMSTART
	
             v_fmac_f32 v118, v25, v18 
             
	;;#ASMEND
	;;#ASMSTART
	
             v_fmac_f32 v128, v25, v19 
             
	;;#ASMEND
	ds_load_b128 v[16:19], v181 offset:29440
	ds_load_b128 v[22:25], v180 offset:13056
	s_waitcnt lgkmcnt(2)
	;;#ASMSTART
	
             v_fmac_f32 v178, v0, v8 
             
	;;#ASMEND
	;;#ASMSTART
	
             v_fmac_f32 v179, v0, v9 
             
	;;#ASMEND
	;; [unrolled: 5-line block ×16, first 2 shown]
	s_waitcnt lgkmcnt(1)
	;;#ASMSTART
	
             v_fmac_f32 v166, v0, v16 
             
	;;#ASMEND
	;;#ASMSTART
	
             v_fmac_f32 v167, v0, v17 
             
	;;#ASMEND
	;; [unrolled: 5-line block ×16, first 2 shown]
	ds_load_b128 v[0:3], v180 offset:13312
	s_waitcnt lgkmcnt(1)
	;;#ASMSTART
	
             v_fmac_f32 v132, v22, v8 
             
	;;#ASMEND
	;;#ASMSTART
	
             v_fmac_f32 v135, v22, v9 
             
	;;#ASMEND
	;; [unrolled: 5-line block ×16, first 2 shown]
	ds_load_b128 v[8:11], v181 offset:29696
	;;#ASMSTART
	
             v_fmac_f32 v130, v22, v16 
             
	;;#ASMEND
	;;#ASMSTART
	
             v_fmac_f32 v131, v22, v17 
             
	;;#ASMEND
	;; [unrolled: 5-line block ×16, first 2 shown]
	ds_load_b128 v[16:19], v181 offset:29952
	ds_load_b128 v[22:25], v180 offset:13568
	s_waitcnt lgkmcnt(2)
	;;#ASMSTART
	
             v_fmac_f32 v178, v0, v8 
             
	;;#ASMEND
	;;#ASMSTART
	
             v_fmac_f32 v179, v0, v9 
             
	;;#ASMEND
	;; [unrolled: 5-line block ×16, first 2 shown]
	s_waitcnt lgkmcnt(1)
	;;#ASMSTART
	
             v_fmac_f32 v166, v0, v16 
             
	;;#ASMEND
	;;#ASMSTART
	
             v_fmac_f32 v167, v0, v17 
             
	;;#ASMEND
	;; [unrolled: 5-line block ×16, first 2 shown]
	ds_load_b128 v[0:3], v180 offset:13824
	s_waitcnt lgkmcnt(1)
	;;#ASMSTART
	
             v_fmac_f32 v132, v22, v8 
             
	;;#ASMEND
	;;#ASMSTART
	
             v_fmac_f32 v135, v22, v9 
             
	;;#ASMEND
	;; [unrolled: 5-line block ×16, first 2 shown]
	ds_load_b128 v[8:11], v181 offset:30208
	;;#ASMSTART
	
             v_fmac_f32 v130, v22, v16 
             
	;;#ASMEND
	;;#ASMSTART
	
             v_fmac_f32 v131, v22, v17 
             
	;;#ASMEND
	;;#ASMSTART
	
             v_fmac_f32 v39, v22, v18 
             
	;;#ASMEND
	;;#ASMSTART
	
             v_fmac_f32 v129, v22, v19 
             
	;;#ASMEND
	;;#ASMSTART
	
             v_fmac_f32 v86, v23, v16 
             
	;;#ASMEND
	;;#ASMSTART
	
             v_fmac_f32 v87, v23, v17 
             
	;;#ASMEND
	;;#ASMSTART
	
             v_fmac_f32 v84, v23, v18 
             
	;;#ASMEND
	;;#ASMSTART
	
             v_fmac_f32 v85, v23, v19 
             
	;;#ASMEND
	;;#ASMSTART
	
             v_fmac_f32 v102, v24, v16 
             
	;;#ASMEND
	;;#ASMSTART
	
             v_fmac_f32 v103, v24, v17 
             
	;;#ASMEND
	;;#ASMSTART
	
             v_fmac_f32 v100, v24, v18 
             
	;;#ASMEND
	;;#ASMSTART
	
             v_fmac_f32 v101, v24, v19 
             
	;;#ASMEND
	;;#ASMSTART
	
             v_fmac_f32 v119, v25, v16 
             
	;;#ASMEND
	;;#ASMSTART
	
             v_fmac_f32 v117, v25, v17 
             
	;;#ASMEND
	;;#ASMSTART
	
             v_fmac_f32 v118, v25, v18 
             
	;;#ASMEND
	;;#ASMSTART
	
             v_fmac_f32 v128, v25, v19 
             
	;;#ASMEND
	ds_load_b128 v[16:19], v181 offset:30464
	ds_load_b128 v[22:25], v180 offset:14080
	s_waitcnt lgkmcnt(2)
	;;#ASMSTART
	
             v_fmac_f32 v178, v0, v8 
             
	;;#ASMEND
	;;#ASMSTART
	
             v_fmac_f32 v179, v0, v9 
             
	;;#ASMEND
	;; [unrolled: 5-line block ×16, first 2 shown]
	s_waitcnt lgkmcnt(1)
	;;#ASMSTART
	
             v_fmac_f32 v166, v0, v16 
             
	;;#ASMEND
	;;#ASMSTART
	
             v_fmac_f32 v167, v0, v17 
             
	;;#ASMEND
	;; [unrolled: 5-line block ×16, first 2 shown]
	ds_load_b128 v[0:3], v180 offset:14336
	s_waitcnt lgkmcnt(1)
	;;#ASMSTART
	
             v_fmac_f32 v132, v22, v8 
             
	;;#ASMEND
	;;#ASMSTART
	
             v_fmac_f32 v135, v22, v9 
             
	;;#ASMEND
	;; [unrolled: 5-line block ×16, first 2 shown]
	ds_load_b128 v[8:11], v181 offset:30720
	;;#ASMSTART
	
             v_fmac_f32 v130, v22, v16 
             
	;;#ASMEND
	;;#ASMSTART
	
             v_fmac_f32 v131, v22, v17 
             
	;;#ASMEND
	;; [unrolled: 5-line block ×16, first 2 shown]
	ds_load_b128 v[16:19], v181 offset:30976
	ds_load_b128 v[22:25], v180 offset:14592
	s_waitcnt lgkmcnt(2)
	;;#ASMSTART
	
             v_fmac_f32 v178, v0, v8 
             
	;;#ASMEND
	;;#ASMSTART
	
             v_fmac_f32 v179, v0, v9 
             
	;;#ASMEND
	;; [unrolled: 5-line block ×16, first 2 shown]
	s_waitcnt lgkmcnt(1)
	;;#ASMSTART
	
             v_fmac_f32 v166, v0, v16 
             
	;;#ASMEND
	;;#ASMSTART
	
             v_fmac_f32 v167, v0, v17 
             
	;;#ASMEND
	;; [unrolled: 5-line block ×16, first 2 shown]
	ds_load_b128 v[0:3], v180 offset:14848
	s_waitcnt lgkmcnt(1)
	;;#ASMSTART
	
             v_fmac_f32 v132, v22, v8 
             
	;;#ASMEND
	;;#ASMSTART
	
             v_fmac_f32 v135, v22, v9 
             
	;;#ASMEND
	;; [unrolled: 5-line block ×16, first 2 shown]
	ds_load_b128 v[8:11], v181 offset:31232
	;;#ASMSTART
	
             v_fmac_f32 v130, v22, v16 
             
	;;#ASMEND
	;;#ASMSTART
	
             v_fmac_f32 v131, v22, v17 
             
	;;#ASMEND
	;; [unrolled: 5-line block ×16, first 2 shown]
	ds_load_b128 v[16:19], v181 offset:31488
	ds_load_b128 v[22:25], v180 offset:15104
	s_waitcnt lgkmcnt(2)
	;;#ASMSTART
	
             v_fmac_f32 v178, v0, v8 
             
	;;#ASMEND
	;;#ASMSTART
	
             v_fmac_f32 v179, v0, v9 
             
	;;#ASMEND
	;; [unrolled: 5-line block ×16, first 2 shown]
	s_waitcnt lgkmcnt(1)
	;;#ASMSTART
	
             v_fmac_f32 v166, v0, v16 
             
	;;#ASMEND
	;;#ASMSTART
	
             v_fmac_f32 v167, v0, v17 
             
	;;#ASMEND
	;;#ASMSTART
	
             v_fmac_f32 v164, v0, v18 
             
	;;#ASMEND
	;;#ASMSTART
	
             v_fmac_f32 v165, v0, v19 
             
	;;#ASMEND
	;;#ASMSTART
	
             v_fmac_f32 v150, v1, v16 
             
	;;#ASMEND
	;;#ASMSTART
	
             v_fmac_f32 v151, v1, v17 
             
	;;#ASMEND
	;;#ASMSTART
	
             v_fmac_f32 v70, v1, v18 
             
	;;#ASMEND
	;;#ASMSTART
	
             v_fmac_f32 v71, v1, v19 
             
	;;#ASMEND
	;;#ASMSTART
	
             v_fmac_f32 v66, v2, v16 
             
	;;#ASMEND
	;;#ASMSTART
	
             v_fmac_f32 v67, v2, v17 
             
	;;#ASMEND
	;;#ASMSTART
	
             v_fmac_f32 v64, v2, v18 
             
	;;#ASMEND
	;;#ASMSTART
	
             v_fmac_f32 v65, v2, v19 
             
	;;#ASMEND
	;;#ASMSTART
	
             v_fmac_f32 v83, v3, v16 
             
	;;#ASMEND
	;;#ASMSTART
	
             v_fmac_f32 v82, v3, v17 
             
	;;#ASMEND
	;;#ASMSTART
	
             v_fmac_f32 v80, v3, v18 
             
	;;#ASMEND
	;;#ASMSTART
	
             v_fmac_f32 v81, v3, v19 
             
	;;#ASMEND
	ds_load_b128 v[0:3], v180 offset:15360
	s_waitcnt lgkmcnt(1)
	;;#ASMSTART
	
             v_fmac_f32 v132, v22, v8 
             
	;;#ASMEND
	;;#ASMSTART
	
             v_fmac_f32 v135, v22, v9 
             
	;;#ASMEND
	;;#ASMSTART
	
             v_fmac_f32 v134, v22, v10 
             
	;;#ASMEND
	;;#ASMSTART
	
             v_fmac_f32 v133, v22, v11 
             
	;;#ASMEND
	;;#ASMSTART
	
             v_fmac_f32 v55, v23, v8 
             
	;;#ASMEND
	;;#ASMSTART
	
             v_fmac_f32 v54, v23, v9 
             
	;;#ASMEND
	;;#ASMSTART
	
             v_fmac_f32 v53, v23, v10 
             
	;;#ASMEND
	;;#ASMSTART
	
             v_fmac_f32 v52, v23, v11 
             
	;;#ASMEND
	;;#ASMSTART
	
             v_fmac_f32 v99, v24, v8 
             
	;;#ASMEND
	;;#ASMSTART
	
             v_fmac_f32 v98, v24, v9 
             
	;;#ASMEND
	;;#ASMSTART
	
             v_fmac_f32 v97, v24, v10 
             
	;;#ASMEND
	;;#ASMSTART
	
             v_fmac_f32 v96, v24, v11 
             
	;;#ASMEND
	;;#ASMSTART
	
             v_fmac_f32 v115, v25, v8 
             
	;;#ASMEND
	;;#ASMSTART
	
             v_fmac_f32 v114, v25, v9 
             
	;;#ASMEND
	;;#ASMSTART
	
             v_fmac_f32 v112, v25, v10 
             
	;;#ASMEND
	;;#ASMSTART
	
             v_fmac_f32 v113, v25, v11 
             
	;;#ASMEND
	ds_load_b128 v[8:11], v181 offset:31744
	;;#ASMSTART
	
             v_fmac_f32 v130, v22, v16 
             
	;;#ASMEND
	;;#ASMSTART
	
             v_fmac_f32 v131, v22, v17 
             
	;;#ASMEND
	;; [unrolled: 5-line block ×16, first 2 shown]
	ds_load_b128 v[16:19], v181 offset:32000
	ds_load_b128 v[22:25], v180 offset:15616
	s_waitcnt lgkmcnt(2)
	;;#ASMSTART
	
             v_fmac_f32 v178, v0, v8 
             
	;;#ASMEND
	;;#ASMSTART
	
             v_fmac_f32 v179, v0, v9 
             
	;;#ASMEND
	;; [unrolled: 5-line block ×16, first 2 shown]
	s_waitcnt lgkmcnt(1)
	;;#ASMSTART
	
             v_fmac_f32 v166, v0, v16 
             
	;;#ASMEND
	;;#ASMSTART
	
             v_fmac_f32 v167, v0, v17 
             
	;;#ASMEND
	;; [unrolled: 5-line block ×16, first 2 shown]
	ds_load_b128 v[0:3], v180 offset:15872
	s_waitcnt lgkmcnt(1)
	;;#ASMSTART
	
             v_fmac_f32 v132, v22, v8 
             
	;;#ASMEND
	;;#ASMSTART
	
             v_fmac_f32 v135, v22, v9 
             
	;;#ASMEND
	;; [unrolled: 5-line block ×16, first 2 shown]
	ds_load_b128 v[8:11], v181 offset:32256
	;;#ASMSTART
	
             v_fmac_f32 v130, v22, v16 
             
	;;#ASMEND
	;;#ASMSTART
	
             v_fmac_f32 v131, v22, v17 
             
	;;#ASMEND
	;; [unrolled: 5-line block ×16, first 2 shown]
	ds_load_b128 v[16:19], v181 offset:32512
	ds_load_b128 v[22:25], v180 offset:16128
	s_waitcnt lgkmcnt(2)
	;;#ASMSTART
	
             v_fmac_f32 v178, v0, v8 
             
	;;#ASMEND
	;;#ASMSTART
	
             v_fmac_f32 v179, v0, v9 
             
	;;#ASMEND
	;; [unrolled: 5-line block ×16, first 2 shown]
	s_waitcnt lgkmcnt(1)
	;;#ASMSTART
	
             v_fmac_f32 v166, v0, v16 
             
	;;#ASMEND
	;;#ASMSTART
	
             v_fmac_f32 v167, v0, v17 
             
	;;#ASMEND
	;; [unrolled: 5-line block ×16, first 2 shown]
	s_waitcnt lgkmcnt(0)
	;;#ASMSTART
	
             v_fmac_f32 v132, v22, v8 
             
	;;#ASMEND
	;;#ASMSTART
	
             v_fmac_f32 v135, v22, v9 
             
	;;#ASMEND
	;; [unrolled: 5-line block ×32, first 2 shown]
	s_clause 0x3
	flat_load_b64 v[4:5], v[12:13] offset:8
	flat_load_b32 v10, v[12:13] offset:32
	flat_load_b32 v183, v[12:13] offset:20
	flat_load_b32 v1, v[12:13] offset:72
	v_lshl_add_u32 v182, s8, 7, v69
	v_lshl_add_u32 v180, s9, 7, v68
	v_mov_b32_e32 v23, 0x31004000
	s_mov_b32 s8, exec_lo
	s_waitcnt vmcnt(3) lgkmcnt(3)
	v_mul_lo_u32 v0, v4, v182
	s_waitcnt vmcnt(2) lgkmcnt(2)
	v_cmp_gt_i32_e32 vcc_lo, v10, v180
	s_waitcnt vmcnt(1) lgkmcnt(1)
	v_cmp_gt_i32_e64 s1, v183, v182
	s_waitcnt vmcnt(0) lgkmcnt(0)
	v_lshlrev_b32_e32 v22, 2, v1
	s_delay_alu instid0(VALU_DEP_2) | instskip(SKIP_1) | instid1(VALU_DEP_1)
	s_and_b32 s0, s1, vcc_lo
	v_mad_u64_u32 v[8:9], null, v5, v180, v[0:1]
	v_lshlrev_b32_e32 v9, 2, v8
.LBB7_35:                               ; =>This Inner Loop Header: Depth=1
	v_readfirstlane_b32 s4, v20
	v_readfirstlane_b32 s5, v21
	;; [unrolled: 1-line block ×4, first 2 shown]
	s_delay_alu instid0(VALU_DEP_3) | instskip(NEXT) | instid1(VALU_DEP_2)
	v_cmp_eq_u64_e64 s2, s[4:5], v[20:21]
	v_cmp_eq_u64_e64 s3, s[6:7], v[22:23]
	s_delay_alu instid0(VALU_DEP_1) | instskip(NEXT) | instid1(SALU_CYCLE_1)
	s_and_b32 s2, s2, s3
	s_and_saveexec_b32 s2, s2
	buffer_load_b128 v[0:3], v9, s[4:7], 0 offen
                                        ; implicit-def: $vgpr9
	s_xor_b32 exec_lo, exec_lo, s2
	s_cbranch_execnz .LBB7_35
; %bb.36:
	s_mov_b32 exec_lo, s8
	s_waitcnt vmcnt(0)
	v_cndmask_b32_e64 v0, 0, v0, s0
	v_cndmask_b32_e64 v1, 0, v1, s0
	;; [unrolled: 1-line block ×4, first 2 shown]
	v_add_nc_u32_e32 v181, 64, v180
	s_delay_alu instid0(VALU_DEP_4) | instskip(NEXT) | instid1(VALU_DEP_4)
	v_dual_add_f32 v0, v178, v0 :: v_dual_add_f32 v1, v179, v1
	v_dual_add_f32 v3, v177, v3 :: v_dual_lshlrev_b32 v178, 6, v5
	s_delay_alu instid0(VALU_DEP_4) | instskip(NEXT) | instid1(VALU_DEP_4)
	v_add_f32_e32 v2, v176, v2
	v_cmp_gt_i32_e64 s0, v10, v181
	s_delay_alu instid0(VALU_DEP_4) | instskip(NEXT) | instid1(VALU_DEP_3)
	v_dual_max_f32 v24, 0, v0 :: v_dual_max_f32 v25, 0, v1
	v_dual_max_f32 v27, 0, v3 :: v_dual_max_f32 v26, 0, v2
	v_add_lshl_u32 v5, v8, v178, 2
	s_delay_alu instid0(VALU_DEP_4)
	s_and_b32 s1, s1, s0
	s_mov_b32 s8, exec_lo
.LBB7_37:                               ; =>This Inner Loop Header: Depth=1
	v_readfirstlane_b32 s4, v20
	v_readfirstlane_b32 s5, v21
	;; [unrolled: 1-line block ×4, first 2 shown]
	s_delay_alu instid0(VALU_DEP_3) | instskip(NEXT) | instid1(VALU_DEP_2)
	v_cmp_eq_u64_e64 s2, s[4:5], v[20:21]
	v_cmp_eq_u64_e64 s3, s[6:7], v[22:23]
	s_delay_alu instid0(VALU_DEP_1) | instskip(NEXT) | instid1(SALU_CYCLE_1)
	s_and_b32 s2, s2, s3
	s_and_saveexec_b32 s2, s2
	buffer_load_b128 v[0:3], v5, s[4:7], 0 offen
                                        ; implicit-def: $vgpr5
	s_xor_b32 exec_lo, exec_lo, s2
	s_cbranch_execnz .LBB7_37
; %bb.38:
	s_mov_b32 exec_lo, s8
	s_waitcnt vmcnt(0)
	v_cndmask_b32_e64 v0, 0, v0, s1
	v_cndmask_b32_e64 v1, 0, v1, s1
	;; [unrolled: 1-line block ×4, first 2 shown]
	v_or_b32_e32 v176, 1, v182
	s_delay_alu instid0(VALU_DEP_4) | instskip(NEXT) | instid1(VALU_DEP_3)
	v_dual_add_f32 v0, v166, v0 :: v_dual_add_f32 v1, v167, v1
	v_dual_add_f32 v3, v165, v3 :: v_dual_add_f32 v2, v164, v2
	v_add_nc_u32_e32 v5, v8, v4
	s_delay_alu instid0(VALU_DEP_4) | instskip(NEXT) | instid1(VALU_DEP_4)
	v_cmp_gt_i32_e64 s1, v183, v176
	v_dual_max_f32 v28, 0, v0 :: v_dual_max_f32 v29, 0, v1
	s_delay_alu instid0(VALU_DEP_4) | instskip(NEXT) | instid1(VALU_DEP_4)
	v_dual_max_f32 v30, 0, v2 :: v_dual_max_f32 v31, 0, v3
	v_lshlrev_b32_e32 v8, 2, v5
	s_delay_alu instid0(VALU_DEP_4)
	s_and_b32 s2, s1, vcc_lo
	s_mov_b32 s5, exec_lo
.LBB7_39:                               ; =>This Inner Loop Header: Depth=1
	v_readfirstlane_b32 s8, v20
	v_readfirstlane_b32 s9, v21
	;; [unrolled: 1-line block ×4, first 2 shown]
	s_delay_alu instid0(VALU_DEP_3) | instskip(NEXT) | instid1(VALU_DEP_2)
	v_cmp_eq_u64_e64 s3, s[8:9], v[20:21]
	v_cmp_eq_u64_e64 s4, s[10:11], v[22:23]
	s_delay_alu instid0(VALU_DEP_1) | instskip(NEXT) | instid1(SALU_CYCLE_1)
	s_and_b32 s3, s3, s4
	s_and_saveexec_b32 s3, s3
	buffer_load_b128 v[0:3], v8, s[8:11], 0 offen
                                        ; implicit-def: $vgpr8
	s_xor_b32 exec_lo, exec_lo, s3
	s_cbranch_execnz .LBB7_39
; %bb.40:
	s_mov_b32 exec_lo, s5
	s_waitcnt vmcnt(0)
	v_cndmask_b32_e64 v0, 0, v0, s2
	v_cndmask_b32_e64 v1, 0, v1, s2
	;; [unrolled: 1-line block ×4, first 2 shown]
	v_add_lshl_u32 v8, v5, v178, 2
	s_delay_alu instid0(VALU_DEP_4) | instskip(NEXT) | instid1(VALU_DEP_3)
	v_dual_add_f32 v0, v163, v0 :: v_dual_add_f32 v1, v162, v1
	v_dual_add_f32 v2, v161, v2 :: v_dual_add_f32 v3, v160, v3
	s_and_b32 s1, s1, s0
	s_delay_alu instid0(VALU_DEP_2) | instskip(NEXT) | instid1(VALU_DEP_2)
	v_dual_max_f32 v16, 0, v0 :: v_dual_max_f32 v17, 0, v1
	v_dual_max_f32 v18, 0, v2 :: v_dual_max_f32 v19, 0, v3
	s_mov_b32 s8, exec_lo
.LBB7_41:                               ; =>This Inner Loop Header: Depth=1
	v_readfirstlane_b32 s4, v20
	v_readfirstlane_b32 s5, v21
	;; [unrolled: 1-line block ×4, first 2 shown]
	s_delay_alu instid0(VALU_DEP_3) | instskip(NEXT) | instid1(VALU_DEP_2)
	v_cmp_eq_u64_e64 s2, s[4:5], v[20:21]
	v_cmp_eq_u64_e64 s3, s[6:7], v[22:23]
	s_delay_alu instid0(VALU_DEP_1) | instskip(NEXT) | instid1(SALU_CYCLE_1)
	s_and_b32 s2, s2, s3
	s_and_saveexec_b32 s2, s2
	buffer_load_b128 v[0:3], v8, s[4:7], 0 offen
                                        ; implicit-def: $vgpr8
	s_xor_b32 exec_lo, exec_lo, s2
	s_cbranch_execnz .LBB7_41
; %bb.42:
	s_mov_b32 exec_lo, s8
	s_waitcnt vmcnt(0)
	v_cndmask_b32_e64 v0, 0, v0, s1
	v_cndmask_b32_e64 v1, 0, v1, s1
	;; [unrolled: 1-line block ×4, first 2 shown]
	v_or_b32_e32 v160, 2, v182
	s_delay_alu instid0(VALU_DEP_4) | instskip(NEXT) | instid1(VALU_DEP_3)
	v_dual_add_f32 v0, v150, v0 :: v_dual_add_f32 v1, v151, v1
	v_dual_add_f32 v2, v70, v2 :: v_dual_add_nc_u32 v5, v5, v4
	s_delay_alu instid0(VALU_DEP_2) | instskip(NEXT) | instid1(VALU_DEP_4)
	v_dual_add_f32 v3, v71, v3 :: v_dual_max_f32 v68, 0, v0
	v_cmp_gt_i32_e64 s1, v183, v160
	s_delay_alu instid0(VALU_DEP_3) | instskip(NEXT) | instid1(VALU_DEP_3)
	v_dual_max_f32 v69, 0, v1 :: v_dual_max_f32 v70, 0, v2
	v_dual_max_f32 v71, 0, v3 :: v_dual_lshlrev_b32 v8, 2, v5
	s_delay_alu instid0(VALU_DEP_3)
	s_and_b32 s2, s1, vcc_lo
	s_mov_b32 s5, exec_lo
.LBB7_43:                               ; =>This Inner Loop Header: Depth=1
	v_readfirstlane_b32 s8, v20
	v_readfirstlane_b32 s9, v21
	;; [unrolled: 1-line block ×4, first 2 shown]
	s_delay_alu instid0(VALU_DEP_3) | instskip(NEXT) | instid1(VALU_DEP_2)
	v_cmp_eq_u64_e64 s3, s[8:9], v[20:21]
	v_cmp_eq_u64_e64 s4, s[10:11], v[22:23]
	s_delay_alu instid0(VALU_DEP_1) | instskip(NEXT) | instid1(SALU_CYCLE_1)
	s_and_b32 s3, s3, s4
	s_and_saveexec_b32 s3, s3
	buffer_load_b128 v[0:3], v8, s[8:11], 0 offen
                                        ; implicit-def: $vgpr8
	s_xor_b32 exec_lo, exec_lo, s3
	s_cbranch_execnz .LBB7_43
; %bb.44:
	s_mov_b32 exec_lo, s5
	s_waitcnt vmcnt(0)
	v_cndmask_b32_e64 v0, 0, v0, s2
	v_cndmask_b32_e64 v1, 0, v1, s2
	v_cndmask_b32_e64 v2, 0, v2, s2
	v_cndmask_b32_e64 v3, 0, v3, s2
	v_add_lshl_u32 v8, v5, v178, 2
	s_delay_alu instid0(VALU_DEP_4) | instskip(NEXT) | instid1(VALU_DEP_3)
	v_dual_add_f32 v0, v149, v0 :: v_dual_add_f32 v1, v148, v1
	v_dual_add_f32 v2, v51, v2 :: v_dual_add_f32 v3, v50, v3
	s_and_b32 s1, s1, s0
	s_delay_alu instid0(VALU_DEP_2) | instskip(NEXT) | instid1(VALU_DEP_2)
	v_dual_max_f32 v48, 0, v0 :: v_dual_max_f32 v49, 0, v1
	v_dual_max_f32 v50, 0, v2 :: v_dual_max_f32 v51, 0, v3
	s_mov_b32 s8, exec_lo
.LBB7_45:                               ; =>This Inner Loop Header: Depth=1
	v_readfirstlane_b32 s4, v20
	v_readfirstlane_b32 s5, v21
	;; [unrolled: 1-line block ×4, first 2 shown]
	s_delay_alu instid0(VALU_DEP_3) | instskip(NEXT) | instid1(VALU_DEP_2)
	v_cmp_eq_u64_e64 s2, s[4:5], v[20:21]
	v_cmp_eq_u64_e64 s3, s[6:7], v[22:23]
	s_delay_alu instid0(VALU_DEP_1) | instskip(NEXT) | instid1(SALU_CYCLE_1)
	s_and_b32 s2, s2, s3
	s_and_saveexec_b32 s2, s2
	buffer_load_b128 v[0:3], v8, s[4:7], 0 offen
                                        ; implicit-def: $vgpr8
	s_xor_b32 exec_lo, exec_lo, s2
	s_cbranch_execnz .LBB7_45
; %bb.46:
	s_mov_b32 exec_lo, s8
	s_waitcnt vmcnt(0)
	v_cndmask_b32_e64 v0, 0, v0, s1
	v_cndmask_b32_e64 v1, 0, v1, s1
	;; [unrolled: 1-line block ×4, first 2 shown]
	v_or_b32_e32 v148, 3, v182
	s_delay_alu instid0(VALU_DEP_4) | instskip(NEXT) | instid1(VALU_DEP_3)
	v_dual_add_f32 v0, v66, v0 :: v_dual_add_f32 v1, v67, v1
	v_dual_add_f32 v2, v64, v2 :: v_dual_add_nc_u32 v5, v5, v4
	s_delay_alu instid0(VALU_DEP_2) | instskip(NEXT) | instid1(VALU_DEP_4)
	v_dual_add_f32 v3, v65, v3 :: v_dual_max_f32 v64, 0, v0
	v_cmp_gt_i32_e64 s1, v183, v148
	s_delay_alu instid0(VALU_DEP_3) | instskip(NEXT) | instid1(VALU_DEP_3)
	v_dual_max_f32 v65, 0, v1 :: v_dual_max_f32 v66, 0, v2
	v_dual_max_f32 v67, 0, v3 :: v_dual_lshlrev_b32 v8, 2, v5
	s_delay_alu instid0(VALU_DEP_3)
	s_and_b32 s2, s1, vcc_lo
	s_mov_b32 s5, exec_lo
.LBB7_47:                               ; =>This Inner Loop Header: Depth=1
	v_readfirstlane_b32 s8, v20
	v_readfirstlane_b32 s9, v21
	;; [unrolled: 1-line block ×4, first 2 shown]
	s_delay_alu instid0(VALU_DEP_3) | instskip(NEXT) | instid1(VALU_DEP_2)
	v_cmp_eq_u64_e64 s3, s[8:9], v[20:21]
	v_cmp_eq_u64_e64 s4, s[10:11], v[22:23]
	s_delay_alu instid0(VALU_DEP_1) | instskip(NEXT) | instid1(SALU_CYCLE_1)
	s_and_b32 s3, s3, s4
	s_and_saveexec_b32 s3, s3
	buffer_load_b128 v[0:3], v8, s[8:11], 0 offen
                                        ; implicit-def: $vgpr8
	s_xor_b32 exec_lo, exec_lo, s3
	s_cbranch_execnz .LBB7_47
; %bb.48:
	s_mov_b32 exec_lo, s5
	s_waitcnt vmcnt(0)
	v_cndmask_b32_e64 v0, 0, v0, s2
	v_cndmask_b32_e64 v1, 0, v1, s2
	;; [unrolled: 1-line block ×4, first 2 shown]
	v_add_lshl_u32 v8, v5, v178, 2
	s_delay_alu instid0(VALU_DEP_4) | instskip(NEXT) | instid1(VALU_DEP_3)
	v_dual_add_f32 v0, v147, v0 :: v_dual_add_f32 v1, v146, v1
	v_dual_add_f32 v2, v145, v2 :: v_dual_add_f32 v3, v144, v3
	s_and_b32 s1, s1, s0
	s_delay_alu instid0(VALU_DEP_2) | instskip(NEXT) | instid1(VALU_DEP_2)
	v_dual_max_f32 v32, 0, v0 :: v_dual_max_f32 v33, 0, v1
	v_dual_max_f32 v34, 0, v2 :: v_dual_max_f32 v35, 0, v3
	s_mov_b32 s8, exec_lo
.LBB7_49:                               ; =>This Inner Loop Header: Depth=1
	v_readfirstlane_b32 s4, v20
	v_readfirstlane_b32 s5, v21
	v_readfirstlane_b32 s6, v22
	v_readfirstlane_b32 s7, v23
	s_delay_alu instid0(VALU_DEP_3) | instskip(NEXT) | instid1(VALU_DEP_2)
	v_cmp_eq_u64_e64 s2, s[4:5], v[20:21]
	v_cmp_eq_u64_e64 s3, s[6:7], v[22:23]
	s_delay_alu instid0(VALU_DEP_1) | instskip(NEXT) | instid1(SALU_CYCLE_1)
	s_and_b32 s2, s2, s3
	s_and_saveexec_b32 s2, s2
	buffer_load_b128 v[0:3], v8, s[4:7], 0 offen
                                        ; implicit-def: $vgpr8
	s_xor_b32 exec_lo, exec_lo, s2
	s_cbranch_execnz .LBB7_49
; %bb.50:
	s_mov_b32 exec_lo, s8
	s_waitcnt vmcnt(0)
	v_cndmask_b32_e64 v0, 0, v0, s1
	v_cndmask_b32_e64 v1, 0, v1, s1
	;; [unrolled: 1-line block ×4, first 2 shown]
	v_mad_u64_u32 v[12:13], null, v4, 61, v[5:6]
	s_delay_alu instid0(VALU_DEP_3) | instskip(SKIP_1) | instid1(VALU_DEP_4)
	v_dual_add_f32 v3, v81, v3 :: v_dual_add_nc_u32 v144, 64, v182
	v_dual_add_f32 v0, v83, v0 :: v_dual_add_f32 v1, v82, v1
	v_add_f32_e32 v2, v80, v2
	s_delay_alu instid0(VALU_DEP_3) | instskip(NEXT) | instid1(VALU_DEP_3)
	v_cmp_gt_i32_e64 s1, v183, v144
	v_dual_max_f32 v83, 0, v3 :: v_dual_max_f32 v80, 0, v0
	s_delay_alu instid0(VALU_DEP_3) | instskip(SKIP_1) | instid1(VALU_DEP_4)
	v_dual_max_f32 v81, 0, v1 :: v_dual_max_f32 v82, 0, v2
	v_lshlrev_b32_e32 v5, 2, v12
	s_and_b32 s2, s1, vcc_lo
	s_mov_b32 s5, exec_lo
.LBB7_51:                               ; =>This Inner Loop Header: Depth=1
	v_readfirstlane_b32 s8, v20
	v_readfirstlane_b32 s9, v21
	;; [unrolled: 1-line block ×4, first 2 shown]
	s_delay_alu instid0(VALU_DEP_3) | instskip(NEXT) | instid1(VALU_DEP_2)
	v_cmp_eq_u64_e64 s3, s[8:9], v[20:21]
	v_cmp_eq_u64_e64 s4, s[10:11], v[22:23]
	s_delay_alu instid0(VALU_DEP_1) | instskip(NEXT) | instid1(SALU_CYCLE_1)
	s_and_b32 s3, s3, s4
	s_and_saveexec_b32 s3, s3
	buffer_load_b128 v[0:3], v5, s[8:11], 0 offen
                                        ; implicit-def: $vgpr5
	s_xor_b32 exec_lo, exec_lo, s3
	s_cbranch_execnz .LBB7_51
; %bb.52:
	s_mov_b32 exec_lo, s5
	s_waitcnt vmcnt(0)
	v_cndmask_b32_e64 v0, 0, v0, s2
	v_cndmask_b32_e64 v1, 0, v1, s2
	;; [unrolled: 1-line block ×4, first 2 shown]
	v_add_lshl_u32 v5, v12, v178, 2
	s_delay_alu instid0(VALU_DEP_4) | instskip(NEXT) | instid1(VALU_DEP_3)
	v_dual_add_f32 v0, v132, v0 :: v_dual_add_f32 v1, v135, v1
	v_dual_add_f32 v2, v134, v2 :: v_dual_add_f32 v3, v133, v3
	s_and_b32 s1, s1, s0
	s_delay_alu instid0(VALU_DEP_2) | instskip(NEXT) | instid1(VALU_DEP_2)
	v_dual_max_f32 v0, 0, v0 :: v_dual_max_f32 v1, 0, v1
	v_dual_max_f32 v2, 0, v2 :: v_dual_max_f32 v3, 0, v3
	s_mov_b32 s8, exec_lo
.LBB7_53:                               ; =>This Inner Loop Header: Depth=1
	v_readfirstlane_b32 s4, v20
	v_readfirstlane_b32 s5, v21
	;; [unrolled: 1-line block ×4, first 2 shown]
	s_delay_alu instid0(VALU_DEP_3) | instskip(NEXT) | instid1(VALU_DEP_2)
	v_cmp_eq_u64_e64 s2, s[4:5], v[20:21]
	v_cmp_eq_u64_e64 s3, s[6:7], v[22:23]
	s_delay_alu instid0(VALU_DEP_1) | instskip(NEXT) | instid1(SALU_CYCLE_1)
	s_and_b32 s2, s2, s3
	s_and_saveexec_b32 s2, s2
	buffer_load_b128 v[8:11], v5, s[4:7], 0 offen
                                        ; implicit-def: $vgpr5
	s_xor_b32 exec_lo, exec_lo, s2
	s_cbranch_execnz .LBB7_53
; %bb.54:
	s_mov_b32 exec_lo, s8
	s_waitcnt vmcnt(0)
	v_cndmask_b32_e64 v5, 0, v8, s1
	v_cndmask_b32_e64 v8, 0, v9, s1
	;; [unrolled: 1-line block ×4, first 2 shown]
	s_delay_alu instid0(VALU_DEP_4) | instskip(NEXT) | instid1(VALU_DEP_3)
	v_dual_add_f32 v11, v130, v5 :: v_dual_add_nc_u32 v132, 0x41, v182
	v_dual_add_f32 v8, v131, v8 :: v_dual_add_f32 v9, v129, v9
	s_delay_alu instid0(VALU_DEP_3) | instskip(NEXT) | instid1(VALU_DEP_3)
	v_dual_add_f32 v12, v39, v10 :: v_dual_add_nc_u32 v5, v12, v4
	v_cmp_gt_i32_e64 s1, v183, v132
	s_delay_alu instid0(VALU_DEP_3) | instskip(NEXT) | instid1(VALU_DEP_3)
	v_dual_max_f32 v10, 0, v11 :: v_dual_max_f32 v11, 0, v8
	v_dual_max_f32 v13, 0, v9 :: v_dual_max_f32 v12, 0, v12
	s_delay_alu instid0(VALU_DEP_4) | instskip(NEXT) | instid1(VALU_DEP_4)
	v_lshlrev_b32_e32 v8, 2, v5
	s_and_b32 s2, s1, vcc_lo
	s_mov_b32 s5, exec_lo
.LBB7_55:                               ; =>This Inner Loop Header: Depth=1
	v_readfirstlane_b32 s8, v20
	v_readfirstlane_b32 s9, v21
	;; [unrolled: 1-line block ×4, first 2 shown]
	s_delay_alu instid0(VALU_DEP_3) | instskip(NEXT) | instid1(VALU_DEP_2)
	v_cmp_eq_u64_e64 s3, s[8:9], v[20:21]
	v_cmp_eq_u64_e64 s4, s[10:11], v[22:23]
	s_delay_alu instid0(VALU_DEP_1) | instskip(NEXT) | instid1(SALU_CYCLE_1)
	s_and_b32 s3, s3, s4
	s_and_saveexec_b32 s3, s3
	buffer_load_b128 v[36:39], v8, s[8:11], 0 offen
                                        ; implicit-def: $vgpr8
	s_xor_b32 exec_lo, exec_lo, s3
	s_cbranch_execnz .LBB7_55
; %bb.56:
	s_mov_b32 exec_lo, s5
	s_waitcnt vmcnt(0)
	v_cndmask_b32_e64 v8, 0, v36, s2
	v_cndmask_b32_e64 v9, 0, v37, s2
	;; [unrolled: 1-line block ×4, first 2 shown]
	s_and_b32 s1, s1, s0
	s_delay_alu instid0(VALU_DEP_3) | instskip(NEXT) | instid1(VALU_DEP_2)
	v_dual_add_f32 v8, v55, v8 :: v_dual_add_f32 v9, v54, v9
	v_dual_add_f32 v38, v53, v36 :: v_dual_add_f32 v39, v52, v37
	s_mov_b32 s8, exec_lo
	s_delay_alu instid0(VALU_DEP_2) | instskip(NEXT) | instid1(VALU_DEP_2)
	v_dual_max_f32 v36, 0, v8 :: v_dual_max_f32 v37, 0, v9
	v_dual_max_f32 v38, 0, v38 :: v_dual_max_f32 v39, 0, v39
	v_add_lshl_u32 v8, v5, v178, 2
.LBB7_57:                               ; =>This Inner Loop Header: Depth=1
	v_readfirstlane_b32 s4, v20
	v_readfirstlane_b32 s5, v21
	;; [unrolled: 1-line block ×4, first 2 shown]
	s_delay_alu instid0(VALU_DEP_3) | instskip(NEXT) | instid1(VALU_DEP_2)
	v_cmp_eq_u64_e64 s2, s[4:5], v[20:21]
	v_cmp_eq_u64_e64 s3, s[6:7], v[22:23]
	s_delay_alu instid0(VALU_DEP_1) | instskip(NEXT) | instid1(SALU_CYCLE_1)
	s_and_b32 s2, s2, s3
	s_and_saveexec_b32 s2, s2
	buffer_load_b128 v[52:55], v8, s[4:7], 0 offen
                                        ; implicit-def: $vgpr8
	s_xor_b32 exec_lo, exec_lo, s2
	s_cbranch_execnz .LBB7_57
; %bb.58:
	s_mov_b32 exec_lo, s8
	s_waitcnt vmcnt(0)
	v_cndmask_b32_e64 v8, 0, v52, s1
	v_cndmask_b32_e64 v9, 0, v53, s1
	;; [unrolled: 1-line block ×4, first 2 shown]
	s_delay_alu instid0(VALU_DEP_4) | instskip(NEXT) | instid1(VALU_DEP_4)
	v_dual_add_f32 v8, v86, v8 :: v_dual_add_nc_u32 v129, 0x42, v182
	v_add_f32_e32 v9, v87, v9
	s_delay_alu instid0(VALU_DEP_3) | instskip(SKIP_1) | instid1(VALU_DEP_4)
	v_dual_add_f32 v54, v84, v53 :: v_dual_add_nc_u32 v5, v5, v4
	v_add_f32_e32 v55, v85, v52
	v_cmp_gt_i32_e64 s1, v183, v129
	s_delay_alu instid0(VALU_DEP_4) | instskip(NEXT) | instid1(VALU_DEP_3)
	v_dual_max_f32 v52, 0, v8 :: v_dual_max_f32 v53, 0, v9
	v_dual_max_f32 v54, 0, v54 :: v_dual_max_f32 v55, 0, v55
	v_lshlrev_b32_e32 v8, 2, v5
	s_delay_alu instid0(VALU_DEP_4)
	s_and_b32 s2, s1, vcc_lo
	s_mov_b32 s5, exec_lo
.LBB7_59:                               ; =>This Inner Loop Header: Depth=1
	v_readfirstlane_b32 s8, v20
	v_readfirstlane_b32 s9, v21
	;; [unrolled: 1-line block ×4, first 2 shown]
	s_delay_alu instid0(VALU_DEP_3) | instskip(NEXT) | instid1(VALU_DEP_2)
	v_cmp_eq_u64_e64 s3, s[8:9], v[20:21]
	v_cmp_eq_u64_e64 s4, s[10:11], v[22:23]
	s_delay_alu instid0(VALU_DEP_1) | instskip(NEXT) | instid1(SALU_CYCLE_1)
	s_and_b32 s3, s3, s4
	s_and_saveexec_b32 s3, s3
	buffer_load_b128 v[84:87], v8, s[8:11], 0 offen
                                        ; implicit-def: $vgpr8
	s_xor_b32 exec_lo, exec_lo, s3
	s_cbranch_execnz .LBB7_59
; %bb.60:
	s_mov_b32 exec_lo, s5
	s_waitcnt vmcnt(0)
	v_cndmask_b32_e64 v8, 0, v84, s2
	v_cndmask_b32_e64 v9, 0, v85, s2
	;; [unrolled: 1-line block ×4, first 2 shown]
	s_and_b32 s1, s1, s0
	s_delay_alu instid0(VALU_DEP_3) | instskip(NEXT) | instid1(VALU_DEP_2)
	v_dual_add_f32 v8, v99, v8 :: v_dual_add_f32 v9, v98, v9
	v_dual_add_f32 v86, v97, v84 :: v_dual_add_f32 v87, v96, v85
	s_mov_b32 s8, exec_lo
	s_delay_alu instid0(VALU_DEP_2) | instskip(NEXT) | instid1(VALU_DEP_2)
	v_dual_max_f32 v84, 0, v8 :: v_dual_max_f32 v85, 0, v9
	v_dual_max_f32 v86, 0, v86 :: v_dual_max_f32 v87, 0, v87
	v_add_lshl_u32 v8, v5, v178, 2
.LBB7_61:                               ; =>This Inner Loop Header: Depth=1
	v_readfirstlane_b32 s4, v20
	v_readfirstlane_b32 s5, v21
	;; [unrolled: 1-line block ×4, first 2 shown]
	s_delay_alu instid0(VALU_DEP_3) | instskip(NEXT) | instid1(VALU_DEP_2)
	v_cmp_eq_u64_e64 s2, s[4:5], v[20:21]
	v_cmp_eq_u64_e64 s3, s[6:7], v[22:23]
	s_delay_alu instid0(VALU_DEP_1) | instskip(NEXT) | instid1(SALU_CYCLE_1)
	s_and_b32 s2, s2, s3
	s_and_saveexec_b32 s2, s2
	buffer_load_b128 v[96:99], v8, s[4:7], 0 offen
                                        ; implicit-def: $vgpr8
	s_xor_b32 exec_lo, exec_lo, s2
	s_cbranch_execnz .LBB7_61
; %bb.62:
	s_mov_b32 exec_lo, s8
	s_waitcnt vmcnt(0)
	v_cndmask_b32_e64 v8, 0, v96, s1
	v_cndmask_b32_e64 v9, 0, v97, s1
	;; [unrolled: 1-line block ×4, first 2 shown]
	v_add_nc_u32_e32 v130, 0x43, v182
	s_delay_alu instid0(VALU_DEP_4) | instskip(NEXT) | instid1(VALU_DEP_3)
	v_dual_add_f32 v8, v102, v8 :: v_dual_add_f32 v9, v103, v9
	v_dual_add_f32 v5, v100, v97 :: v_dual_add_nc_u32 v4, v5, v4
	v_add_f32_e32 v99, v101, v96
	s_delay_alu instid0(VALU_DEP_4) | instskip(NEXT) | instid1(VALU_DEP_4)
	v_cmp_gt_i32_e64 s1, v183, v130
	v_max_f32_e32 v97, 0, v9
	s_mov_b32 s8, exec_lo
	v_max_f32_e32 v98, 0, v5
	v_dual_max_f32 v96, 0, v8 :: v_dual_max_f32 v99, 0, v99
	v_lshlrev_b32_e32 v5, 2, v4
	s_and_b32 vcc_lo, s1, vcc_lo
.LBB7_63:                               ; =>This Inner Loop Header: Depth=1
	v_readfirstlane_b32 s4, v20
	v_readfirstlane_b32 s5, v21
	;; [unrolled: 1-line block ×4, first 2 shown]
	s_delay_alu instid0(VALU_DEP_3) | instskip(NEXT) | instid1(VALU_DEP_2)
	v_cmp_eq_u64_e64 s2, s[4:5], v[20:21]
	v_cmp_eq_u64_e64 s3, s[6:7], v[22:23]
	s_delay_alu instid0(VALU_DEP_1) | instskip(NEXT) | instid1(SALU_CYCLE_1)
	s_and_b32 s2, s2, s3
	s_and_saveexec_b32 s2, s2
	buffer_load_b128 v[100:103], v5, s[4:7], 0 offen
                                        ; implicit-def: $vgpr5
	s_xor_b32 exec_lo, exec_lo, s2
	s_cbranch_execnz .LBB7_63
; %bb.64:
	s_mov_b32 exec_lo, s8
	s_waitcnt vmcnt(0)
	v_dual_cndmask_b32 v5, 0, v100 :: v_dual_cndmask_b32 v8, 0, v101
	v_dual_cndmask_b32 v9, 0, v102 :: v_dual_cndmask_b32 v100, 0, v103
	v_add_lshl_u32 v4, v4, v178, 2
	s_delay_alu instid0(VALU_DEP_3) | instskip(NEXT) | instid1(VALU_DEP_3)
	v_dual_add_f32 v5, v115, v5 :: v_dual_add_f32 v8, v114, v8
	v_add_f32_e32 v9, v112, v9
	s_delay_alu instid0(VALU_DEP_4) | instskip(SKIP_1) | instid1(VALU_DEP_3)
	v_add_f32_e32 v103, v113, v100
	s_and_b32 vcc_lo, s1, s0
	v_dual_max_f32 v100, 0, v5 :: v_dual_max_f32 v101, 0, v8
	s_delay_alu instid0(VALU_DEP_2)
	v_dual_max_f32 v102, 0, v9 :: v_dual_max_f32 v103, 0, v103
	s_mov_b32 s2, exec_lo
.LBB7_65:                               ; =>This Inner Loop Header: Depth=1
	v_readfirstlane_b32 s4, v20
	v_readfirstlane_b32 s5, v21
	;; [unrolled: 1-line block ×4, first 2 shown]
	s_delay_alu instid0(VALU_DEP_3) | instskip(NEXT) | instid1(VALU_DEP_2)
	v_cmp_eq_u64_e64 s0, s[4:5], v[20:21]
	v_cmp_eq_u64_e64 s1, s[6:7], v[22:23]
	s_delay_alu instid0(VALU_DEP_1) | instskip(NEXT) | instid1(SALU_CYCLE_1)
	s_and_b32 s0, s0, s1
	s_and_saveexec_b32 s0, s0
	buffer_load_b128 v[112:115], v4, s[4:7], 0 offen
                                        ; implicit-def: $vgpr20_vgpr21_vgpr22_vgpr23
                                        ; implicit-def: $vgpr4
	s_xor_b32 exec_lo, exec_lo, s0
	s_cbranch_execnz .LBB7_65
; %bb.66:
	s_mov_b32 exec_lo, s2
	s_clause 0x2
	flat_load_b64 v[8:9], v[14:15] offset:8
	flat_load_b32 v4, v[14:15] offset:32
	flat_load_b32 v5, v[14:15] offset:20
	s_waitcnt vmcnt(3)
	v_dual_cndmask_b32 v20, 0, v112 :: v_dual_cndmask_b32 v21, 0, v113
	v_cndmask_b32_e32 v22, 0, v114, vcc_lo
	s_mov_b32 s1, exec_lo
	s_delay_alu instid0(VALU_DEP_2) | instskip(NEXT) | instid1(VALU_DEP_2)
	v_dual_cndmask_b32 v23, 0, v115 :: v_dual_add_f32 v20, v119, v20
	v_dual_add_f32 v21, v117, v21 :: v_dual_add_f32 v22, v118, v22
	s_delay_alu instid0(VALU_DEP_2) | instskip(NEXT) | instid1(VALU_DEP_2)
	v_dual_add_f32 v23, v128, v23 :: v_dual_max_f32 v20, 0, v20
	v_dual_max_f32 v21, 0, v21 :: v_dual_max_f32 v22, 0, v22
	s_delay_alu instid0(VALU_DEP_2)
	v_max_f32_e32 v23, 0, v23
	s_waitcnt vmcnt(2) lgkmcnt(2)
	v_mul_lo_u32 v8, v8, v182
	s_waitcnt vmcnt(1) lgkmcnt(1)
	v_cmp_gt_i32_e32 vcc_lo, v4, v180
	s_waitcnt vmcnt(0) lgkmcnt(0)
	v_cmp_gt_i32_e64 s0, v5, v182
	s_delay_alu instid0(VALU_DEP_1) | instskip(NEXT) | instid1(VALU_DEP_3)
	s_and_b32 s0, s0, vcc_lo
	v_mad_u64_u32 v[4:5], null, v9, v180, v[8:9]
	v_cndmask_b32_e64 v5, 0x80000000, 0, s0
	v_dual_mov_b32 v9, 0x31004000 :: v_dual_lshlrev_b32 v8, 2, v116
	s_delay_alu instid0(VALU_DEP_2)
	v_lshl_add_u32 v5, v4, 2, v5
.LBB7_67:                               ; =>This Inner Loop Header: Depth=1
	v_readfirstlane_b32 s4, v6
	v_readfirstlane_b32 s5, v7
	s_delay_alu instid0(VALU_DEP_4) | instskip(SKIP_1) | instid1(VALU_DEP_3)
	v_readfirstlane_b32 s6, v8
	v_readfirstlane_b32 s7, v9
	v_cmp_eq_u64_e32 vcc_lo, s[4:5], v[6:7]
	s_delay_alu instid0(VALU_DEP_2) | instskip(NEXT) | instid1(VALU_DEP_1)
	v_cmp_eq_u64_e64 s0, s[6:7], v[8:9]
	s_and_b32 s0, vcc_lo, s0
	s_delay_alu instid0(SALU_CYCLE_1)
	s_and_saveexec_b32 s0, s0
	buffer_store_b128 v[24:27], v5, s[4:7], 0 offen
                                        ; implicit-def: $vgpr24_vgpr25_vgpr26_vgpr27
                                        ; implicit-def: $vgpr5
	s_xor_b32 exec_lo, exec_lo, s0
	s_cbranch_execnz .LBB7_67
; %bb.68:
	s_mov_b32 exec_lo, s1
	s_clause 0x2
	flat_load_b32 v5, v[14:15] offset:32
	flat_load_b32 v24, v[14:15] offset:20
	;; [unrolled: 1-line block ×3, first 2 shown]
	s_mov_b32 s1, exec_lo
	s_waitcnt vmcnt(2) lgkmcnt(2)
	v_cmp_gt_i32_e32 vcc_lo, v5, v181
	s_waitcnt vmcnt(1) lgkmcnt(1)
	v_cmp_gt_i32_e64 s0, v24, v182
	s_waitcnt vmcnt(0) lgkmcnt(0)
	v_lshl_add_u32 v4, v25, 6, v4
	s_delay_alu instid0(VALU_DEP_2) | instskip(NEXT) | instid1(SALU_CYCLE_1)
	s_and_b32 s0, s0, vcc_lo
	v_cndmask_b32_e64 v5, 0x80000000, 0, s0
	s_delay_alu instid0(VALU_DEP_1)
	v_lshl_add_u32 v5, v4, 2, v5
.LBB7_69:                               ; =>This Inner Loop Header: Depth=1
	v_readfirstlane_b32 s4, v6
	v_readfirstlane_b32 s5, v7
	;; [unrolled: 1-line block ×4, first 2 shown]
	s_delay_alu instid0(VALU_DEP_3) | instskip(NEXT) | instid1(VALU_DEP_2)
	v_cmp_eq_u64_e32 vcc_lo, s[4:5], v[6:7]
	v_cmp_eq_u64_e64 s0, s[6:7], v[8:9]
	s_delay_alu instid0(VALU_DEP_1) | instskip(NEXT) | instid1(SALU_CYCLE_1)
	s_and_b32 s0, vcc_lo, s0
	s_and_saveexec_b32 s0, s0
	buffer_store_b128 v[28:31], v5, s[4:7], 0 offen
                                        ; implicit-def: $vgpr28_vgpr29_vgpr30_vgpr31
                                        ; implicit-def: $vgpr5
	s_xor_b32 exec_lo, exec_lo, s0
	s_cbranch_execnz .LBB7_69
; %bb.70:
	s_mov_b32 exec_lo, s1
	s_clause 0x2
	flat_load_b32 v5, v[14:15] offset:32
	flat_load_b32 v24, v[14:15] offset:20
	;; [unrolled: 1-line block ×3, first 2 shown]
	s_mov_b32 s1, exec_lo
	s_waitcnt vmcnt(2) lgkmcnt(2)
	v_cmp_gt_i32_e32 vcc_lo, v5, v181
	s_waitcnt vmcnt(1) lgkmcnt(1)
	v_cmp_gt_i32_e64 s0, v24, v176
	s_waitcnt vmcnt(0) lgkmcnt(0)
	v_add_nc_u32_e32 v4, v25, v4
	s_delay_alu instid0(VALU_DEP_2) | instskip(NEXT) | instid1(SALU_CYCLE_1)
	s_and_b32 s0, s0, vcc_lo
	v_cndmask_b32_e64 v5, 0x80000000, 0, s0
	s_delay_alu instid0(VALU_DEP_1)
	v_lshl_add_u32 v5, v4, 2, v5
.LBB7_71:                               ; =>This Inner Loop Header: Depth=1
	v_readfirstlane_b32 s4, v6
	v_readfirstlane_b32 s5, v7
	;; [unrolled: 1-line block ×4, first 2 shown]
	s_delay_alu instid0(VALU_DEP_3) | instskip(NEXT) | instid1(VALU_DEP_2)
	v_cmp_eq_u64_e32 vcc_lo, s[4:5], v[6:7]
	v_cmp_eq_u64_e64 s0, s[6:7], v[8:9]
	s_delay_alu instid0(VALU_DEP_1) | instskip(NEXT) | instid1(SALU_CYCLE_1)
	s_and_b32 s0, vcc_lo, s0
	s_and_saveexec_b32 s0, s0
	buffer_store_b128 v[68:71], v5, s[4:7], 0 offen
                                        ; implicit-def: $vgpr68_vgpr69_vgpr70_vgpr71
                                        ; implicit-def: $vgpr5
	s_xor_b32 exec_lo, exec_lo, s0
	s_cbranch_execnz .LBB7_71
; %bb.72:
	s_mov_b32 exec_lo, s1
	s_clause 0x2
	flat_load_b32 v5, v[14:15] offset:12
	flat_load_b32 v24, v[14:15] offset:32
	flat_load_b32 v25, v[14:15] offset:20
	s_mov_b32 s1, exec_lo
	s_waitcnt vmcnt(2) lgkmcnt(2)
	v_lshlrev_b32_e32 v5, 6, v5
	s_waitcnt vmcnt(1) lgkmcnt(1)
	v_cmp_gt_i32_e32 vcc_lo, v24, v180
	s_waitcnt vmcnt(0) lgkmcnt(0)
	v_cmp_gt_i32_e64 s0, v25, v176
	v_sub_nc_u32_e32 v4, v4, v5
	s_delay_alu instid0(VALU_DEP_2) | instskip(NEXT) | instid1(SALU_CYCLE_1)
	s_and_b32 s0, s0, vcc_lo
	v_cndmask_b32_e64 v5, 0x80000000, 0, s0
	s_delay_alu instid0(VALU_DEP_1)
	v_lshl_add_u32 v5, v4, 2, v5
.LBB7_73:                               ; =>This Inner Loop Header: Depth=1
	v_readfirstlane_b32 s4, v6
	v_readfirstlane_b32 s5, v7
	;; [unrolled: 1-line block ×4, first 2 shown]
	s_delay_alu instid0(VALU_DEP_3) | instskip(NEXT) | instid1(VALU_DEP_2)
	v_cmp_eq_u64_e32 vcc_lo, s[4:5], v[6:7]
	v_cmp_eq_u64_e64 s0, s[6:7], v[8:9]
	s_delay_alu instid0(VALU_DEP_1) | instskip(NEXT) | instid1(SALU_CYCLE_1)
	s_and_b32 s0, vcc_lo, s0
	s_and_saveexec_b32 s0, s0
	buffer_store_b128 v[16:19], v5, s[4:7], 0 offen
                                        ; implicit-def: $vgpr16_vgpr17_vgpr18_vgpr19
                                        ; implicit-def: $vgpr5
	s_xor_b32 exec_lo, exec_lo, s0
	s_cbranch_execnz .LBB7_73
; %bb.74:
	s_mov_b32 exec_lo, s1
	s_clause 0x2
	flat_load_b32 v5, v[14:15] offset:32
	flat_load_b32 v16, v[14:15] offset:20
	;; [unrolled: 1-line block ×3, first 2 shown]
	s_mov_b32 s1, exec_lo
	s_waitcnt vmcnt(2) lgkmcnt(2)
	v_cmp_gt_i32_e32 vcc_lo, v5, v180
	s_waitcnt vmcnt(1) lgkmcnt(1)
	v_cmp_gt_i32_e64 s0, v16, v160
	s_waitcnt vmcnt(0) lgkmcnt(0)
	v_add_nc_u32_e32 v4, v17, v4
	s_delay_alu instid0(VALU_DEP_2) | instskip(NEXT) | instid1(SALU_CYCLE_1)
	s_and_b32 s0, s0, vcc_lo
	v_cndmask_b32_e64 v5, 0x80000000, 0, s0
	s_delay_alu instid0(VALU_DEP_1)
	v_lshl_add_u32 v5, v4, 2, v5
.LBB7_75:                               ; =>This Inner Loop Header: Depth=1
	v_readfirstlane_b32 s4, v6
	v_readfirstlane_b32 s5, v7
	;; [unrolled: 1-line block ×4, first 2 shown]
	s_delay_alu instid0(VALU_DEP_3) | instskip(NEXT) | instid1(VALU_DEP_2)
	v_cmp_eq_u64_e32 vcc_lo, s[4:5], v[6:7]
	v_cmp_eq_u64_e64 s0, s[6:7], v[8:9]
	s_delay_alu instid0(VALU_DEP_1) | instskip(NEXT) | instid1(SALU_CYCLE_1)
	s_and_b32 s0, vcc_lo, s0
	s_and_saveexec_b32 s0, s0
	buffer_store_b128 v[48:51], v5, s[4:7], 0 offen
                                        ; implicit-def: $vgpr48_vgpr49_vgpr50_vgpr51
                                        ; implicit-def: $vgpr5
	s_xor_b32 exec_lo, exec_lo, s0
	s_cbranch_execnz .LBB7_75
; %bb.76:
	s_mov_b32 exec_lo, s1
	s_clause 0x2
	flat_load_b32 v5, v[14:15] offset:32
	flat_load_b32 v16, v[14:15] offset:20
	;; [unrolled: 1-line block ×3, first 2 shown]
	s_mov_b32 s1, exec_lo
	s_waitcnt vmcnt(2) lgkmcnt(2)
	v_cmp_gt_i32_e32 vcc_lo, v5, v181
	s_waitcnt vmcnt(1) lgkmcnt(1)
	v_cmp_gt_i32_e64 s0, v16, v160
	s_waitcnt vmcnt(0) lgkmcnt(0)
	v_lshl_add_u32 v4, v17, 6, v4
	s_delay_alu instid0(VALU_DEP_2) | instskip(NEXT) | instid1(SALU_CYCLE_1)
	s_and_b32 s0, s0, vcc_lo
	v_cndmask_b32_e64 v5, 0x80000000, 0, s0
	s_delay_alu instid0(VALU_DEP_1)
	v_lshl_add_u32 v5, v4, 2, v5
.LBB7_77:                               ; =>This Inner Loop Header: Depth=1
	v_readfirstlane_b32 s4, v6
	v_readfirstlane_b32 s5, v7
	;; [unrolled: 1-line block ×4, first 2 shown]
	s_delay_alu instid0(VALU_DEP_3) | instskip(NEXT) | instid1(VALU_DEP_2)
	v_cmp_eq_u64_e32 vcc_lo, s[4:5], v[6:7]
	v_cmp_eq_u64_e64 s0, s[6:7], v[8:9]
	s_delay_alu instid0(VALU_DEP_1) | instskip(NEXT) | instid1(SALU_CYCLE_1)
	s_and_b32 s0, vcc_lo, s0
	s_and_saveexec_b32 s0, s0
	buffer_store_b128 v[64:67], v5, s[4:7], 0 offen
                                        ; implicit-def: $vgpr64_vgpr65_vgpr66_vgpr67
                                        ; implicit-def: $vgpr5
	s_xor_b32 exec_lo, exec_lo, s0
	s_cbranch_execnz .LBB7_77
; %bb.78:
	s_mov_b32 exec_lo, s1
	s_clause 0x2
	flat_load_b32 v5, v[14:15] offset:32
	flat_load_b32 v16, v[14:15] offset:20
	;; [unrolled: 1-line block ×3, first 2 shown]
	s_mov_b32 s1, exec_lo
	s_waitcnt vmcnt(2) lgkmcnt(2)
	v_cmp_gt_i32_e32 vcc_lo, v5, v181
	s_waitcnt vmcnt(1) lgkmcnt(1)
	v_cmp_gt_i32_e64 s0, v16, v148
	s_waitcnt vmcnt(0) lgkmcnt(0)
	v_add_nc_u32_e32 v4, v17, v4
	s_delay_alu instid0(VALU_DEP_2) | instskip(NEXT) | instid1(SALU_CYCLE_1)
	s_and_b32 s0, s0, vcc_lo
	v_cndmask_b32_e64 v5, 0x80000000, 0, s0
	s_delay_alu instid0(VALU_DEP_1)
	v_lshl_add_u32 v5, v4, 2, v5
.LBB7_79:                               ; =>This Inner Loop Header: Depth=1
	v_readfirstlane_b32 s4, v6
	v_readfirstlane_b32 s5, v7
	;; [unrolled: 1-line block ×4, first 2 shown]
	s_delay_alu instid0(VALU_DEP_3) | instskip(NEXT) | instid1(VALU_DEP_2)
	v_cmp_eq_u64_e32 vcc_lo, s[4:5], v[6:7]
	v_cmp_eq_u64_e64 s0, s[6:7], v[8:9]
	s_delay_alu instid0(VALU_DEP_1) | instskip(NEXT) | instid1(SALU_CYCLE_1)
	s_and_b32 s0, vcc_lo, s0
	s_and_saveexec_b32 s0, s0
	buffer_store_b128 v[80:83], v5, s[4:7], 0 offen
                                        ; implicit-def: $vgpr80_vgpr81_vgpr82_vgpr83
                                        ; implicit-def: $vgpr5
	s_xor_b32 exec_lo, exec_lo, s0
	s_cbranch_execnz .LBB7_79
; %bb.80:
	s_mov_b32 exec_lo, s1
	s_clause 0x2
	flat_load_b32 v5, v[14:15] offset:12
	flat_load_b32 v16, v[14:15] offset:32
	;; [unrolled: 1-line block ×3, first 2 shown]
	s_mov_b32 s1, exec_lo
	s_waitcnt vmcnt(2) lgkmcnt(2)
	v_lshlrev_b32_e32 v5, 6, v5
	s_waitcnt vmcnt(1) lgkmcnt(1)
	v_cmp_gt_i32_e32 vcc_lo, v16, v180
	s_waitcnt vmcnt(0) lgkmcnt(0)
	v_cmp_gt_i32_e64 s0, v17, v148
	v_sub_nc_u32_e32 v4, v4, v5
	s_delay_alu instid0(VALU_DEP_2) | instskip(NEXT) | instid1(SALU_CYCLE_1)
	s_and_b32 s0, s0, vcc_lo
	v_cndmask_b32_e64 v16, 0x80000000, 0, s0
	s_delay_alu instid0(VALU_DEP_2) | instskip(NEXT) | instid1(VALU_DEP_1)
	v_lshlrev_b32_e32 v5, 2, v4
	v_add_nc_u32_e32 v16, v16, v5
.LBB7_81:                               ; =>This Inner Loop Header: Depth=1
	v_readfirstlane_b32 s4, v6
	v_readfirstlane_b32 s5, v7
	;; [unrolled: 1-line block ×4, first 2 shown]
	s_delay_alu instid0(VALU_DEP_3) | instskip(NEXT) | instid1(VALU_DEP_2)
	v_cmp_eq_u64_e32 vcc_lo, s[4:5], v[6:7]
	v_cmp_eq_u64_e64 s0, s[6:7], v[8:9]
	s_delay_alu instid0(VALU_DEP_1) | instskip(NEXT) | instid1(SALU_CYCLE_1)
	s_and_b32 s0, vcc_lo, s0
	s_and_saveexec_b32 s0, s0
	buffer_store_b128 v[32:35], v16, s[4:7], 0 offen
                                        ; implicit-def: $vgpr32_vgpr33_vgpr34_vgpr35
                                        ; implicit-def: $vgpr16
	s_xor_b32 exec_lo, exec_lo, s0
	s_cbranch_execnz .LBB7_81
; %bb.82:
	s_mov_b32 exec_lo, s1
	s_clause 0x2
	flat_load_b32 v17, v[14:15] offset:32
	flat_load_b32 v18, v[14:15] offset:20
	;; [unrolled: 1-line block ×3, first 2 shown]
	s_mov_b32 s1, exec_lo
	s_waitcnt vmcnt(2) lgkmcnt(2)
	v_cmp_gt_i32_e32 vcc_lo, v17, v180
	s_waitcnt vmcnt(1) lgkmcnt(1)
	v_cmp_gt_i32_e64 s0, v18, v130
	s_waitcnt vmcnt(0) lgkmcnt(0)
	v_lshlrev_b32_e32 v17, 8, v16
	s_delay_alu instid0(VALU_DEP_2) | instskip(NEXT) | instid1(SALU_CYCLE_1)
	s_and_b32 s0, s0, vcc_lo
	v_cndmask_b32_e64 v18, 0x80000000, 0, s0
	s_delay_alu instid0(VALU_DEP_1)
	v_add3_u32 v5, v17, v5, v18
.LBB7_83:                               ; =>This Inner Loop Header: Depth=1
	v_readfirstlane_b32 s4, v6
	v_readfirstlane_b32 s5, v7
	;; [unrolled: 1-line block ×4, first 2 shown]
	s_delay_alu instid0(VALU_DEP_3) | instskip(NEXT) | instid1(VALU_DEP_2)
	v_cmp_eq_u64_e32 vcc_lo, s[4:5], v[6:7]
	v_cmp_eq_u64_e64 s0, s[6:7], v[8:9]
	s_delay_alu instid0(VALU_DEP_1) | instskip(NEXT) | instid1(SALU_CYCLE_1)
	s_and_b32 s0, vcc_lo, s0
	s_and_saveexec_b32 s0, s0
	buffer_store_b128 v[100:103], v5, s[4:7], 0 offen
                                        ; implicit-def: $vgpr100_vgpr101_vgpr102_vgpr103
                                        ; implicit-def: $vgpr5
	s_xor_b32 exec_lo, exec_lo, s0
	s_cbranch_execnz .LBB7_83
; %bb.84:
	s_mov_b32 exec_lo, s1
	s_clause 0x2
	flat_load_b32 v5, v[14:15] offset:12
	flat_load_b32 v17, v[14:15] offset:32
	;; [unrolled: 1-line block ×3, first 2 shown]
	s_mov_b32 s1, exec_lo
	s_waitcnt vmcnt(2) lgkmcnt(2)
	v_add_nc_u32_e32 v5, v5, v16
	s_waitcnt vmcnt(1) lgkmcnt(1)
	v_cmp_gt_i32_e32 vcc_lo, v17, v181
	s_waitcnt vmcnt(0) lgkmcnt(0)
	v_cmp_gt_i32_e64 s0, v18, v130
	v_lshl_add_u32 v4, v5, 6, v4
	s_delay_alu instid0(VALU_DEP_2) | instskip(NEXT) | instid1(SALU_CYCLE_1)
	s_and_b32 s0, s0, vcc_lo
	v_cndmask_b32_e64 v5, 0x80000000, 0, s0
	s_delay_alu instid0(VALU_DEP_1)
	v_lshl_add_u32 v5, v4, 2, v5
.LBB7_85:                               ; =>This Inner Loop Header: Depth=1
	v_readfirstlane_b32 s4, v6
	v_readfirstlane_b32 s5, v7
	;; [unrolled: 1-line block ×4, first 2 shown]
	s_delay_alu instid0(VALU_DEP_3) | instskip(NEXT) | instid1(VALU_DEP_2)
	v_cmp_eq_u64_e32 vcc_lo, s[4:5], v[6:7]
	v_cmp_eq_u64_e64 s0, s[6:7], v[8:9]
	s_delay_alu instid0(VALU_DEP_1) | instskip(NEXT) | instid1(SALU_CYCLE_1)
	s_and_b32 s0, vcc_lo, s0
	s_and_saveexec_b32 s0, s0
	buffer_store_b128 v[20:23], v5, s[4:7], 0 offen
                                        ; implicit-def: $vgpr20_vgpr21_vgpr22_vgpr23
                                        ; implicit-def: $vgpr5
	s_xor_b32 exec_lo, exec_lo, s0
	s_cbranch_execnz .LBB7_85
; %bb.86:
	s_mov_b32 exec_lo, s1
	s_clause 0x2
	flat_load_b32 v5, v[14:15] offset:32
	flat_load_b32 v16, v[14:15] offset:20
	;; [unrolled: 1-line block ×3, first 2 shown]
	s_mov_b32 s1, exec_lo
	s_waitcnt vmcnt(2) lgkmcnt(2)
	v_cmp_gt_i32_e32 vcc_lo, v5, v181
	s_waitcnt vmcnt(1) lgkmcnt(1)
	v_cmp_ge_i32_e64 s0, v16, v130
	s_waitcnt vmcnt(0) lgkmcnt(0)
	v_sub_nc_u32_e32 v4, v4, v17
	s_delay_alu instid0(VALU_DEP_2) | instskip(NEXT) | instid1(SALU_CYCLE_1)
	s_and_b32 s0, s0, vcc_lo
	v_cndmask_b32_e64 v5, 0x80000000, 0, s0
	s_delay_alu instid0(VALU_DEP_1)
	v_lshl_add_u32 v5, v4, 2, v5
.LBB7_87:                               ; =>This Inner Loop Header: Depth=1
	v_readfirstlane_b32 s4, v6
	v_readfirstlane_b32 s5, v7
	;; [unrolled: 1-line block ×4, first 2 shown]
	s_delay_alu instid0(VALU_DEP_3) | instskip(NEXT) | instid1(VALU_DEP_2)
	v_cmp_eq_u64_e32 vcc_lo, s[4:5], v[6:7]
	v_cmp_eq_u64_e64 s0, s[6:7], v[8:9]
	s_delay_alu instid0(VALU_DEP_1) | instskip(NEXT) | instid1(SALU_CYCLE_1)
	s_and_b32 s0, vcc_lo, s0
	s_and_saveexec_b32 s0, s0
	buffer_store_b128 v[96:99], v5, s[4:7], 0 offen
                                        ; implicit-def: $vgpr96_vgpr97_vgpr98_vgpr99
                                        ; implicit-def: $vgpr5
	s_xor_b32 exec_lo, exec_lo, s0
	s_cbranch_execnz .LBB7_87
; %bb.88:
	s_mov_b32 exec_lo, s1
	s_clause 0x2
	flat_load_b32 v5, v[14:15] offset:12
	flat_load_b32 v16, v[14:15] offset:32
	;; [unrolled: 1-line block ×3, first 2 shown]
	s_mov_b32 s1, exec_lo
	s_waitcnt vmcnt(2) lgkmcnt(2)
	v_lshlrev_b32_e32 v5, 6, v5
	s_waitcnt vmcnt(1) lgkmcnt(1)
	v_cmp_gt_i32_e32 vcc_lo, v16, v180
	s_waitcnt vmcnt(0) lgkmcnt(0)
	v_cmp_gt_i32_e64 s0, v17, v129
	v_sub_nc_u32_e32 v4, v4, v5
	s_delay_alu instid0(VALU_DEP_2) | instskip(NEXT) | instid1(SALU_CYCLE_1)
	s_and_b32 s0, s0, vcc_lo
	v_cndmask_b32_e64 v5, 0x80000000, 0, s0
	s_delay_alu instid0(VALU_DEP_1)
	v_lshl_add_u32 v5, v4, 2, v5
.LBB7_89:                               ; =>This Inner Loop Header: Depth=1
	v_readfirstlane_b32 s4, v6
	v_readfirstlane_b32 s5, v7
	;; [unrolled: 1-line block ×4, first 2 shown]
	s_delay_alu instid0(VALU_DEP_3) | instskip(NEXT) | instid1(VALU_DEP_2)
	v_cmp_eq_u64_e32 vcc_lo, s[4:5], v[6:7]
	v_cmp_eq_u64_e64 s0, s[6:7], v[8:9]
	s_delay_alu instid0(VALU_DEP_1) | instskip(NEXT) | instid1(SALU_CYCLE_1)
	s_and_b32 s0, vcc_lo, s0
	s_and_saveexec_b32 s0, s0
	buffer_store_b128 v[84:87], v5, s[4:7], 0 offen
                                        ; implicit-def: $vgpr84_vgpr85_vgpr86_vgpr87
                                        ; implicit-def: $vgpr5
	s_xor_b32 exec_lo, exec_lo, s0
	s_cbranch_execnz .LBB7_89
; %bb.90:
	s_mov_b32 exec_lo, s1
	s_clause 0x2
	flat_load_b32 v5, v[14:15] offset:32
	flat_load_b32 v16, v[14:15] offset:20
	;; [unrolled: 1-line block ×3, first 2 shown]
	s_mov_b32 s1, exec_lo
	s_waitcnt vmcnt(2) lgkmcnt(2)
	v_cmp_gt_i32_e32 vcc_lo, v5, v180
	s_waitcnt vmcnt(1) lgkmcnt(1)
	v_cmp_ge_i32_e64 s0, v16, v129
	s_waitcnt vmcnt(0) lgkmcnt(0)
	v_sub_nc_u32_e32 v4, v4, v17
	s_delay_alu instid0(VALU_DEP_2) | instskip(NEXT) | instid1(SALU_CYCLE_1)
	s_and_b32 s0, s0, vcc_lo
	v_cndmask_b32_e64 v5, 0x80000000, 0, s0
	s_delay_alu instid0(VALU_DEP_1)
	v_lshl_add_u32 v5, v4, 2, v5
.LBB7_91:                               ; =>This Inner Loop Header: Depth=1
	v_readfirstlane_b32 s4, v6
	v_readfirstlane_b32 s5, v7
	v_readfirstlane_b32 s6, v8
	v_readfirstlane_b32 s7, v9
	s_delay_alu instid0(VALU_DEP_3) | instskip(NEXT) | instid1(VALU_DEP_2)
	v_cmp_eq_u64_e32 vcc_lo, s[4:5], v[6:7]
	v_cmp_eq_u64_e64 s0, s[6:7], v[8:9]
	s_delay_alu instid0(VALU_DEP_1) | instskip(NEXT) | instid1(SALU_CYCLE_1)
	s_and_b32 s0, vcc_lo, s0
	s_and_saveexec_b32 s0, s0
	buffer_store_b128 v[36:39], v5, s[4:7], 0 offen
                                        ; implicit-def: $vgpr36_vgpr37_vgpr38_vgpr39
                                        ; implicit-def: $vgpr5
	s_xor_b32 exec_lo, exec_lo, s0
	s_cbranch_execnz .LBB7_91
; %bb.92:
	s_mov_b32 exec_lo, s1
	s_clause 0x2
	flat_load_b32 v5, v[14:15] offset:32
	flat_load_b32 v16, v[14:15] offset:20
	;; [unrolled: 1-line block ×3, first 2 shown]
	s_mov_b32 s1, exec_lo
	s_waitcnt vmcnt(2) lgkmcnt(2)
	v_cmp_gt_i32_e32 vcc_lo, v5, v181
	s_waitcnt vmcnt(1) lgkmcnt(1)
	v_cmp_gt_i32_e64 s0, v16, v132
	s_waitcnt vmcnt(0) lgkmcnt(0)
	v_lshl_add_u32 v4, v17, 6, v4
	s_delay_alu instid0(VALU_DEP_2) | instskip(NEXT) | instid1(SALU_CYCLE_1)
	s_and_b32 s0, s0, vcc_lo
	v_cndmask_b32_e64 v5, 0x80000000, 0, s0
	s_delay_alu instid0(VALU_DEP_1)
	v_lshl_add_u32 v5, v4, 2, v5
.LBB7_93:                               ; =>This Inner Loop Header: Depth=1
	v_readfirstlane_b32 s4, v6
	v_readfirstlane_b32 s5, v7
	;; [unrolled: 1-line block ×4, first 2 shown]
	s_delay_alu instid0(VALU_DEP_3) | instskip(NEXT) | instid1(VALU_DEP_2)
	v_cmp_eq_u64_e32 vcc_lo, s[4:5], v[6:7]
	v_cmp_eq_u64_e64 s0, s[6:7], v[8:9]
	s_delay_alu instid0(VALU_DEP_1) | instskip(NEXT) | instid1(SALU_CYCLE_1)
	s_and_b32 s0, vcc_lo, s0
	s_and_saveexec_b32 s0, s0
	buffer_store_b128 v[52:55], v5, s[4:7], 0 offen
                                        ; implicit-def: $vgpr52_vgpr53_vgpr54_vgpr55
                                        ; implicit-def: $vgpr5
	s_xor_b32 exec_lo, exec_lo, s0
	s_cbranch_execnz .LBB7_93
; %bb.94:
	s_mov_b32 exec_lo, s1
	s_clause 0x2
	flat_load_b32 v5, v[14:15] offset:8
	flat_load_b32 v16, v[14:15] offset:32
	;; [unrolled: 1-line block ×3, first 2 shown]
	s_mov_b32 s1, exec_lo
	s_waitcnt vmcnt(2) lgkmcnt(2)
	v_sub_nc_u32_e32 v4, v4, v5
	s_waitcnt vmcnt(1) lgkmcnt(1)
	v_cmp_gt_i32_e32 vcc_lo, v16, v181
	s_waitcnt vmcnt(0) lgkmcnt(0)
	v_cmp_ge_i32_e64 s0, v17, v132
	v_lshlrev_b32_e32 v4, 2, v4
	s_delay_alu instid0(VALU_DEP_2) | instskip(NEXT) | instid1(SALU_CYCLE_1)
	s_and_b32 s0, s0, vcc_lo
	v_cndmask_b32_e64 v5, 0x80000000, 0, s0
	s_delay_alu instid0(VALU_DEP_1)
	v_add_nc_u32_e32 v5, v5, v4
.LBB7_95:                               ; =>This Inner Loop Header: Depth=1
	v_readfirstlane_b32 s4, v6
	v_readfirstlane_b32 s5, v7
	;; [unrolled: 1-line block ×4, first 2 shown]
	s_delay_alu instid0(VALU_DEP_3) | instskip(NEXT) | instid1(VALU_DEP_2)
	v_cmp_eq_u64_e32 vcc_lo, s[4:5], v[6:7]
	v_cmp_eq_u64_e64 s0, s[6:7], v[8:9]
	s_delay_alu instid0(VALU_DEP_1) | instskip(NEXT) | instid1(SALU_CYCLE_1)
	s_and_b32 s0, vcc_lo, s0
	s_and_saveexec_b32 s0, s0
	buffer_store_b128 v[10:13], v5, s[4:7], 0 offen
                                        ; implicit-def: $vgpr10_vgpr11_vgpr12_vgpr13
                                        ; implicit-def: $vgpr5
	s_xor_b32 exec_lo, exec_lo, s0
	s_cbranch_execnz .LBB7_95
; %bb.96:
	s_mov_b32 exec_lo, s1
	s_clause 0x2
	flat_load_b32 v5, v[14:15] offset:32
	flat_load_b32 v10, v[14:15] offset:12
	;; [unrolled: 1-line block ×3, first 2 shown]
	s_mov_b32 s1, exec_lo
	s_waitcnt vmcnt(2) lgkmcnt(2)
	v_cmp_gt_i32_e32 vcc_lo, v5, v180
	s_waitcnt vmcnt(1) lgkmcnt(1)
	v_lshlrev_b32_e32 v5, 8, v10
	s_waitcnt vmcnt(0) lgkmcnt(0)
	v_cmp_gt_i32_e64 s0, v11, v144
	s_delay_alu instid0(VALU_DEP_2) | instskip(NEXT) | instid1(VALU_DEP_2)
	v_sub_nc_u32_e32 v4, v4, v5
	s_and_b32 s0, s0, vcc_lo
	s_delay_alu instid0(SALU_CYCLE_1) | instskip(NEXT) | instid1(VALU_DEP_1)
	v_cndmask_b32_e64 v5, 0x80000000, 0, s0
	v_add_nc_u32_e32 v4, v4, v5
.LBB7_97:                               ; =>This Inner Loop Header: Depth=1
	v_readfirstlane_b32 s4, v6
	v_readfirstlane_b32 s5, v7
	;; [unrolled: 1-line block ×4, first 2 shown]
	s_delay_alu instid0(VALU_DEP_3) | instskip(NEXT) | instid1(VALU_DEP_2)
	v_cmp_eq_u64_e32 vcc_lo, s[4:5], v[6:7]
	v_cmp_eq_u64_e64 s0, s[6:7], v[8:9]
	s_delay_alu instid0(VALU_DEP_1) | instskip(NEXT) | instid1(SALU_CYCLE_1)
	s_and_b32 s0, vcc_lo, s0
	s_and_saveexec_b32 s0, s0
	buffer_store_b128 v[0:3], v4, s[4:7], 0 offen
                                        ; implicit-def: $vgpr6_vgpr7_vgpr8_vgpr9
                                        ; implicit-def: $vgpr0_vgpr1_vgpr2_vgpr3
                                        ; implicit-def: $vgpr4
	s_xor_b32 exec_lo, exec_lo, s0
	s_cbranch_execnz .LBB7_97
; %bb.98:
	s_mov_b32 exec_lo, s1
	s_setpc_b64 s[30:31]
.Lfunc_end7:
	.size	_ZN2ck32GridwiseGemmDlMultipleD_km_kn_mnILi256EffNS_5TupleIJfEEEfNS_16tensor_operation12element_wise11PassThroughES5_NS4_7AddReluELNS_25InMemoryDataOperationEnumE0ENS_16TensorDescriptorINS1_IJNS_5EmbedINS1_IJiiiiEEESA_Lb0EEENS_11PassThroughIiEENS_3PadIiiiLb0EEESF_SD_SD_NS9_INS1_IJiiEEESG_Lb0EEESH_SD_NS_23Merge_v2_magic_divisionINS1_IJiiiEEEEESK_NS_8RightPadIiiLb0EEESM_NS_7UnMergeISG_Lb0EEESD_EEENS1_IJNS_8SequenceIJLi0EEEENSQ_IJLi1EEEENSQ_IJLi2EEEENSQ_IJLi3EEEENSQ_IJLi4EEEENSQ_IJLi5EEEENSQ_IJLi6EEEENSQ_IJLi7EEEENSQ_IJLi8EEEENSQ_IJLi9ELi11ELi13EEEENSQ_IJLi10ELi12ELi14EEEENSQ_IJLi15EEEENSQ_IJLi16EEEENSQ_IJLi18EEEENSQ_IJLi17EEEEEEENS1_IJNSQ_IJLi1ELi2ELi3ELi4EEEESW_SX_SY_SZ_NSQ_IJLi9EEEENSQ_IJLi10ELi11EEEENSQ_IJLi12ELi13EEEENSQ_IJLi14EEEES12_S13_S15_S14_NSQ_IJLi19ELi20EEEENSQ_IJLi21EEEEEEENSQ_IJLi19ELi21ELi20EEEElEENS8_INS1_IJSO_SM_SM_SO_SD_EEENS1_IJSR_SS_ST_SV_SU_EEENS1_IJNSQ_IJLi1ELi2EEEESU_SV_NSQ_IJLi5ELi6EEEESY_EEENSQ_IJLi5ELi7ELi6EEEElEENS8_INS1_IJSH_SM_SM_EEENS1_IJSR_SS_ST_EEENS1_IJS1J_SU_SV_EEENSQ_IJLi3ELi4EEEElEELi128ELi128ELi16ELi1ELi4ELi4ELi1ENSQ_IJLi8ELi2EEEES1T_NSQ_IJLi8ELi1ELi1ELi1EEEENSQ_IJLi2ELi1ELi128ELi1EEEENSQ_IJLi1ELi2ELi0ELi3EEEES1W_NSQ_IJLi4ELi1ELi1ELi1EEEES1W_NSQ_IJLi1ELi1ELi1ELi1EEEES1U_S1V_S1W_S1W_S1X_S1W_S1Y_NSQ_IJLi0ELi1ELi2ELi3ELi4ELi5EEEELi5ELi4EE3RunINS1_IJNS8_INS1_IJSH_SM_SM_NSN_INS1_IJiNS_17integral_constantIiLi2EEENS22_IiLi64EEEEEELb0EEES26_EEENS1_IJSR_SS_ST_SU_SV_EEENS1_IJS1J_SU_SV_NSQ_IJLi5ELi6ELi7EEEENSQ_IJLi8ELi9ELi10EEEEEEENSQ_IJLi5ELi6ELi7ELi8ELi9ELi10EEEElEEEEELb1ELb1ENS_31BlockToCTileMap_M00_N00_M01_N01ILi128ELi128ES1S_Lb0EEEEEvPKfS2I_NS1_IJS2I_EEEPfPvRKS5_S2N_RKS6_RKNS8_INS1_IJSB_SD_SF_SF_SD_SD_SH_SH_SD_SK_SK_SM_SM_SO_SD_SD_NSN_INS1_IJiNS22_IiLi128EEEEEELb0EEENSC_INS22_IiLi1EEEEEEEENS1_IJSR_SS_ST_SU_SV_SW_SX_SY_SZ_S10_S11_S12_S13_S14_S15_NSQ_IJLi19EEEES1D_NSQ_IJLi20EEEEEEENS1_IJS17_SW_SX_SY_SZ_S18_S19_S1A_S1B_S12_S13_S15_S14_S1C_S1D_NSQ_IJLi22EEEENSQ_IJLi23ELi24EEEENSQ_IJLi25EEEEEEENSQ_IJLi22ELi23ELi24ELi25EEEElEERKNS8_INS1_IJSO_SM_SM_SO_SD_SD_S2S_S2U_EEENS1_IJSR_SS_ST_SV_SU_SW_SY_SX_EEENS1_IJS1J_SU_SV_S1K_SY_SZ_NSQ_IJLi9ELi10EEEENSQ_IJLi11EEEEEEENSQ_IJLi8ELi9ELi10ELi11EEEElEERKT_RKS2D_RKT2_NS22_IbXT0_EEENS22_IbXT1_EEE, .Lfunc_end7-_ZN2ck32GridwiseGemmDlMultipleD_km_kn_mnILi256EffNS_5TupleIJfEEEfNS_16tensor_operation12element_wise11PassThroughES5_NS4_7AddReluELNS_25InMemoryDataOperationEnumE0ENS_16TensorDescriptorINS1_IJNS_5EmbedINS1_IJiiiiEEESA_Lb0EEENS_11PassThroughIiEENS_3PadIiiiLb0EEESF_SD_SD_NS9_INS1_IJiiEEESG_Lb0EEESH_SD_NS_23Merge_v2_magic_divisionINS1_IJiiiEEEEESK_NS_8RightPadIiiLb0EEESM_NS_7UnMergeISG_Lb0EEESD_EEENS1_IJNS_8SequenceIJLi0EEEENSQ_IJLi1EEEENSQ_IJLi2EEEENSQ_IJLi3EEEENSQ_IJLi4EEEENSQ_IJLi5EEEENSQ_IJLi6EEEENSQ_IJLi7EEEENSQ_IJLi8EEEENSQ_IJLi9ELi11ELi13EEEENSQ_IJLi10ELi12ELi14EEEENSQ_IJLi15EEEENSQ_IJLi16EEEENSQ_IJLi18EEEENSQ_IJLi17EEEEEEENS1_IJNSQ_IJLi1ELi2ELi3ELi4EEEESW_SX_SY_SZ_NSQ_IJLi9EEEENSQ_IJLi10ELi11EEEENSQ_IJLi12ELi13EEEENSQ_IJLi14EEEES12_S13_S15_S14_NSQ_IJLi19ELi20EEEENSQ_IJLi21EEEEEEENSQ_IJLi19ELi21ELi20EEEElEENS8_INS1_IJSO_SM_SM_SO_SD_EEENS1_IJSR_SS_ST_SV_SU_EEENS1_IJNSQ_IJLi1ELi2EEEESU_SV_NSQ_IJLi5ELi6EEEESY_EEENSQ_IJLi5ELi7ELi6EEEElEENS8_INS1_IJSH_SM_SM_EEENS1_IJSR_SS_ST_EEENS1_IJS1J_SU_SV_EEENSQ_IJLi3ELi4EEEElEELi128ELi128ELi16ELi1ELi4ELi4ELi1ENSQ_IJLi8ELi2EEEES1T_NSQ_IJLi8ELi1ELi1ELi1EEEENSQ_IJLi2ELi1ELi128ELi1EEEENSQ_IJLi1ELi2ELi0ELi3EEEES1W_NSQ_IJLi4ELi1ELi1ELi1EEEES1W_NSQ_IJLi1ELi1ELi1ELi1EEEES1U_S1V_S1W_S1W_S1X_S1W_S1Y_NSQ_IJLi0ELi1ELi2ELi3ELi4ELi5EEEELi5ELi4EE3RunINS1_IJNS8_INS1_IJSH_SM_SM_NSN_INS1_IJiNS_17integral_constantIiLi2EEENS22_IiLi64EEEEEELb0EEES26_EEENS1_IJSR_SS_ST_SU_SV_EEENS1_IJS1J_SU_SV_NSQ_IJLi5ELi6ELi7EEEENSQ_IJLi8ELi9ELi10EEEEEEENSQ_IJLi5ELi6ELi7ELi8ELi9ELi10EEEElEEEEELb1ELb1ENS_31BlockToCTileMap_M00_N00_M01_N01ILi128ELi128ES1S_Lb0EEEEEvPKfS2I_NS1_IJS2I_EEEPfPvRKS5_S2N_RKS6_RKNS8_INS1_IJSB_SD_SF_SF_SD_SD_SH_SH_SD_SK_SK_SM_SM_SO_SD_SD_NSN_INS1_IJiNS22_IiLi128EEEEEELb0EEENSC_INS22_IiLi1EEEEEEEENS1_IJSR_SS_ST_SU_SV_SW_SX_SY_SZ_S10_S11_S12_S13_S14_S15_NSQ_IJLi19EEEES1D_NSQ_IJLi20EEEEEEENS1_IJS17_SW_SX_SY_SZ_S18_S19_S1A_S1B_S12_S13_S15_S14_S1C_S1D_NSQ_IJLi22EEEENSQ_IJLi23ELi24EEEENSQ_IJLi25EEEEEEENSQ_IJLi22ELi23ELi24ELi25EEEElEERKNS8_INS1_IJSO_SM_SM_SO_SD_SD_S2S_S2U_EEENS1_IJSR_SS_ST_SV_SU_SW_SY_SX_EEENS1_IJS1J_SU_SV_S1K_SY_SZ_NSQ_IJLi9ELi10EEEENSQ_IJLi11EEEEEEENSQ_IJLi8ELi9ELi10ELi11EEEElEERKT_RKS2D_RKT2_NS22_IbXT0_EEENS22_IbXT1_EEE
                                        ; -- End function
	.section	.AMDGPU.csdata,"",@progbits
; Function info:
; codeLenInByte = 95872
; NumSgprs: 34
; NumVgprs: 248
; ScratchSize: 0
; MemoryBound: 0
	.section	.text._ZN2ck16tensor_operation6device12_GLOBAL__N_137kernel_grouped_conv_fwd_dl_multiple_dINS_32GridwiseGemmDlMultipleD_km_kn_mnILi256EffNS_5TupleIJfEEEfNS0_12element_wise11PassThroughES8_NS7_7AddReluELNS_25InMemoryDataOperationEnumE0ENS_16TensorDescriptorINS5_IJNS_5EmbedINS5_IJiiiiEEESD_Lb0EEENS_11PassThroughIiEENS_3PadIiiiLb0EEESI_SG_SG_NSC_INS5_IJiiEEESJ_Lb0EEESK_SG_NS_23Merge_v2_magic_divisionINS5_IJiiiEEEEESN_NS_8RightPadIiiLb0EEESP_NS_7UnMergeISJ_Lb0EEESG_EEENS5_IJNS_8SequenceIJLi0EEEENST_IJLi1EEEENST_IJLi2EEEENST_IJLi3EEEENST_IJLi4EEEENST_IJLi5EEEENST_IJLi6EEEENST_IJLi7EEEENST_IJLi8EEEENST_IJLi9ELi11ELi13EEEENST_IJLi10ELi12ELi14EEEENST_IJLi15EEEENST_IJLi16EEEENST_IJLi18EEEENST_IJLi17EEEEEEENS5_IJNST_IJLi1ELi2ELi3ELi4EEEESZ_S10_S11_S12_NST_IJLi9EEEENST_IJLi10ELi11EEEENST_IJLi12ELi13EEEENST_IJLi14EEEES15_S16_S18_S17_NST_IJLi19ELi20EEEENST_IJLi21EEEEEEENST_IJLi19ELi21ELi20EEEElEENSB_INS5_IJSR_SP_SP_SR_SG_EEENS5_IJSU_SV_SW_SY_SX_EEENS5_IJNST_IJLi1ELi2EEEESX_SY_NST_IJLi5ELi6EEEES11_EEENST_IJLi5ELi7ELi6EEEElEENSB_INS5_IJSK_SP_SP_EEENS5_IJSU_SV_SW_EEENS5_IJS1M_SX_SY_EEENST_IJLi3ELi4EEEElEELi128ELi128ELi16ELi1ELi4ELi4ELi1ENST_IJLi8ELi2EEEES1W_NST_IJLi8ELi1ELi1ELi1EEEENST_IJLi2ELi1ELi128ELi1EEEENST_IJLi1ELi2ELi0ELi3EEEES1Z_NST_IJLi4ELi1ELi1ELi1EEEES1Z_NST_IJLi1ELi1ELi1ELi1EEEES1X_S1Y_S1Z_S1Z_S20_S1Z_S21_NST_IJLi0ELi1ELi2ELi3ELi4ELi5EEEELi5ELi4EEEfNS5_IJPKfEEEfS8_S8_S9_NSB_INS5_IJSE_SG_SI_SI_SG_SG_SK_SK_SG_SN_SN_SP_SP_SR_SG_SG_NSQ_INS5_IJiNS_17integral_constantIiLi128EEEEEELb0EEENSF_INS27_IiLi1EEEEEEEENS5_IJSU_SV_SW_SX_SY_SZ_S10_S11_S12_S13_S14_S15_S16_S17_S18_NST_IJLi19EEEES1G_NST_IJLi20EEEEEEENS5_IJS1A_SZ_S10_S11_S12_S1B_S1C_S1D_S1E_S15_S16_S18_S17_S1F_S1G_NST_IJLi22EEEENST_IJLi23ELi24EEEENST_IJLi25EEEEEEENST_IJLi22ELi23ELi24ELi25EEEElEENSB_INS5_IJSR_SP_SP_SR_SG_SG_S2A_S2C_EEENS5_IJSU_SV_SW_SY_SX_SZ_S11_S10_EEENS5_IJS1M_SX_SY_S1N_S11_S12_NST_IJLi9ELi10EEEENST_IJLi11EEEEEEENST_IJLi8ELi9ELi10ELi11EEEElEENS5_IJNSB_INS5_IJSK_SP_SP_NSQ_INS5_IJiNS27_IiLi2EEENS27_IiLi64EEEEEELb0EEES2X_EEENS5_IJSU_SV_SW_SX_SY_EEENS5_IJS1M_SX_SY_NST_IJLi5ELi6ELi7EEEENST_IJLi8ELi9ELi10EEEEEEENST_IJLi5ELi6ELi7ELi8ELi9ELi10EEEElEEEEES34_NS_31BlockToCTileMap_M00_N00_M01_N01ILi128ELi128ES1V_Lb0EEENS1_30ComputePtrOffsetOfStridedBatchILi1ELi1ELi1EvEELb1ELb1EEEvPKT0_S3C_T1_PT2_T3_T4_T5_iT6_T7_T8_T9_T10_T11_,"axG",@progbits,_ZN2ck16tensor_operation6device12_GLOBAL__N_137kernel_grouped_conv_fwd_dl_multiple_dINS_32GridwiseGemmDlMultipleD_km_kn_mnILi256EffNS_5TupleIJfEEEfNS0_12element_wise11PassThroughES8_NS7_7AddReluELNS_25InMemoryDataOperationEnumE0ENS_16TensorDescriptorINS5_IJNS_5EmbedINS5_IJiiiiEEESD_Lb0EEENS_11PassThroughIiEENS_3PadIiiiLb0EEESI_SG_SG_NSC_INS5_IJiiEEESJ_Lb0EEESK_SG_NS_23Merge_v2_magic_divisionINS5_IJiiiEEEEESN_NS_8RightPadIiiLb0EEESP_NS_7UnMergeISJ_Lb0EEESG_EEENS5_IJNS_8SequenceIJLi0EEEENST_IJLi1EEEENST_IJLi2EEEENST_IJLi3EEEENST_IJLi4EEEENST_IJLi5EEEENST_IJLi6EEEENST_IJLi7EEEENST_IJLi8EEEENST_IJLi9ELi11ELi13EEEENST_IJLi10ELi12ELi14EEEENST_IJLi15EEEENST_IJLi16EEEENST_IJLi18EEEENST_IJLi17EEEEEEENS5_IJNST_IJLi1ELi2ELi3ELi4EEEESZ_S10_S11_S12_NST_IJLi9EEEENST_IJLi10ELi11EEEENST_IJLi12ELi13EEEENST_IJLi14EEEES15_S16_S18_S17_NST_IJLi19ELi20EEEENST_IJLi21EEEEEEENST_IJLi19ELi21ELi20EEEElEENSB_INS5_IJSR_SP_SP_SR_SG_EEENS5_IJSU_SV_SW_SY_SX_EEENS5_IJNST_IJLi1ELi2EEEESX_SY_NST_IJLi5ELi6EEEES11_EEENST_IJLi5ELi7ELi6EEEElEENSB_INS5_IJSK_SP_SP_EEENS5_IJSU_SV_SW_EEENS5_IJS1M_SX_SY_EEENST_IJLi3ELi4EEEElEELi128ELi128ELi16ELi1ELi4ELi4ELi1ENST_IJLi8ELi2EEEES1W_NST_IJLi8ELi1ELi1ELi1EEEENST_IJLi2ELi1ELi128ELi1EEEENST_IJLi1ELi2ELi0ELi3EEEES1Z_NST_IJLi4ELi1ELi1ELi1EEEES1Z_NST_IJLi1ELi1ELi1ELi1EEEES1X_S1Y_S1Z_S1Z_S20_S1Z_S21_NST_IJLi0ELi1ELi2ELi3ELi4ELi5EEEELi5ELi4EEEfNS5_IJPKfEEEfS8_S8_S9_NSB_INS5_IJSE_SG_SI_SI_SG_SG_SK_SK_SG_SN_SN_SP_SP_SR_SG_SG_NSQ_INS5_IJiNS_17integral_constantIiLi128EEEEEELb0EEENSF_INS27_IiLi1EEEEEEEENS5_IJSU_SV_SW_SX_SY_SZ_S10_S11_S12_S13_S14_S15_S16_S17_S18_NST_IJLi19EEEES1G_NST_IJLi20EEEEEEENS5_IJS1A_SZ_S10_S11_S12_S1B_S1C_S1D_S1E_S15_S16_S18_S17_S1F_S1G_NST_IJLi22EEEENST_IJLi23ELi24EEEENST_IJLi25EEEEEEENST_IJLi22ELi23ELi24ELi25EEEElEENSB_INS5_IJSR_SP_SP_SR_SG_SG_S2A_S2C_EEENS5_IJSU_SV_SW_SY_SX_SZ_S11_S10_EEENS5_IJS1M_SX_SY_S1N_S11_S12_NST_IJLi9ELi10EEEENST_IJLi11EEEEEEENST_IJLi8ELi9ELi10ELi11EEEElEENS5_IJNSB_INS5_IJSK_SP_SP_NSQ_INS5_IJiNS27_IiLi2EEENS27_IiLi64EEEEEELb0EEES2X_EEENS5_IJSU_SV_SW_SX_SY_EEENS5_IJS1M_SX_SY_NST_IJLi5ELi6ELi7EEEENST_IJLi8ELi9ELi10EEEEEEENST_IJLi5ELi6ELi7ELi8ELi9ELi10EEEElEEEEES34_NS_31BlockToCTileMap_M00_N00_M01_N01ILi128ELi128ES1V_Lb0EEENS1_30ComputePtrOffsetOfStridedBatchILi1ELi1ELi1EvEELb1ELb1EEEvPKT0_S3C_T1_PT2_T3_T4_T5_iT6_T7_T8_T9_T10_T11_,comdat
	.globl	_ZN2ck16tensor_operation6device12_GLOBAL__N_137kernel_grouped_conv_fwd_dl_multiple_dINS_32GridwiseGemmDlMultipleD_km_kn_mnILi256EffNS_5TupleIJfEEEfNS0_12element_wise11PassThroughES8_NS7_7AddReluELNS_25InMemoryDataOperationEnumE0ENS_16TensorDescriptorINS5_IJNS_5EmbedINS5_IJiiiiEEESD_Lb0EEENS_11PassThroughIiEENS_3PadIiiiLb0EEESI_SG_SG_NSC_INS5_IJiiEEESJ_Lb0EEESK_SG_NS_23Merge_v2_magic_divisionINS5_IJiiiEEEEESN_NS_8RightPadIiiLb0EEESP_NS_7UnMergeISJ_Lb0EEESG_EEENS5_IJNS_8SequenceIJLi0EEEENST_IJLi1EEEENST_IJLi2EEEENST_IJLi3EEEENST_IJLi4EEEENST_IJLi5EEEENST_IJLi6EEEENST_IJLi7EEEENST_IJLi8EEEENST_IJLi9ELi11ELi13EEEENST_IJLi10ELi12ELi14EEEENST_IJLi15EEEENST_IJLi16EEEENST_IJLi18EEEENST_IJLi17EEEEEEENS5_IJNST_IJLi1ELi2ELi3ELi4EEEESZ_S10_S11_S12_NST_IJLi9EEEENST_IJLi10ELi11EEEENST_IJLi12ELi13EEEENST_IJLi14EEEES15_S16_S18_S17_NST_IJLi19ELi20EEEENST_IJLi21EEEEEEENST_IJLi19ELi21ELi20EEEElEENSB_INS5_IJSR_SP_SP_SR_SG_EEENS5_IJSU_SV_SW_SY_SX_EEENS5_IJNST_IJLi1ELi2EEEESX_SY_NST_IJLi5ELi6EEEES11_EEENST_IJLi5ELi7ELi6EEEElEENSB_INS5_IJSK_SP_SP_EEENS5_IJSU_SV_SW_EEENS5_IJS1M_SX_SY_EEENST_IJLi3ELi4EEEElEELi128ELi128ELi16ELi1ELi4ELi4ELi1ENST_IJLi8ELi2EEEES1W_NST_IJLi8ELi1ELi1ELi1EEEENST_IJLi2ELi1ELi128ELi1EEEENST_IJLi1ELi2ELi0ELi3EEEES1Z_NST_IJLi4ELi1ELi1ELi1EEEES1Z_NST_IJLi1ELi1ELi1ELi1EEEES1X_S1Y_S1Z_S1Z_S20_S1Z_S21_NST_IJLi0ELi1ELi2ELi3ELi4ELi5EEEELi5ELi4EEEfNS5_IJPKfEEEfS8_S8_S9_NSB_INS5_IJSE_SG_SI_SI_SG_SG_SK_SK_SG_SN_SN_SP_SP_SR_SG_SG_NSQ_INS5_IJiNS_17integral_constantIiLi128EEEEEELb0EEENSF_INS27_IiLi1EEEEEEEENS5_IJSU_SV_SW_SX_SY_SZ_S10_S11_S12_S13_S14_S15_S16_S17_S18_NST_IJLi19EEEES1G_NST_IJLi20EEEEEEENS5_IJS1A_SZ_S10_S11_S12_S1B_S1C_S1D_S1E_S15_S16_S18_S17_S1F_S1G_NST_IJLi22EEEENST_IJLi23ELi24EEEENST_IJLi25EEEEEEENST_IJLi22ELi23ELi24ELi25EEEElEENSB_INS5_IJSR_SP_SP_SR_SG_SG_S2A_S2C_EEENS5_IJSU_SV_SW_SY_SX_SZ_S11_S10_EEENS5_IJS1M_SX_SY_S1N_S11_S12_NST_IJLi9ELi10EEEENST_IJLi11EEEEEEENST_IJLi8ELi9ELi10ELi11EEEElEENS5_IJNSB_INS5_IJSK_SP_SP_NSQ_INS5_IJiNS27_IiLi2EEENS27_IiLi64EEEEEELb0EEES2X_EEENS5_IJSU_SV_SW_SX_SY_EEENS5_IJS1M_SX_SY_NST_IJLi5ELi6ELi7EEEENST_IJLi8ELi9ELi10EEEEEEENST_IJLi5ELi6ELi7ELi8ELi9ELi10EEEElEEEEES34_NS_31BlockToCTileMap_M00_N00_M01_N01ILi128ELi128ES1V_Lb0EEENS1_30ComputePtrOffsetOfStridedBatchILi1ELi1ELi1EvEELb1ELb1EEEvPKT0_S3C_T1_PT2_T3_T4_T5_iT6_T7_T8_T9_T10_T11_ ; -- Begin function _ZN2ck16tensor_operation6device12_GLOBAL__N_137kernel_grouped_conv_fwd_dl_multiple_dINS_32GridwiseGemmDlMultipleD_km_kn_mnILi256EffNS_5TupleIJfEEEfNS0_12element_wise11PassThroughES8_NS7_7AddReluELNS_25InMemoryDataOperationEnumE0ENS_16TensorDescriptorINS5_IJNS_5EmbedINS5_IJiiiiEEESD_Lb0EEENS_11PassThroughIiEENS_3PadIiiiLb0EEESI_SG_SG_NSC_INS5_IJiiEEESJ_Lb0EEESK_SG_NS_23Merge_v2_magic_divisionINS5_IJiiiEEEEESN_NS_8RightPadIiiLb0EEESP_NS_7UnMergeISJ_Lb0EEESG_EEENS5_IJNS_8SequenceIJLi0EEEENST_IJLi1EEEENST_IJLi2EEEENST_IJLi3EEEENST_IJLi4EEEENST_IJLi5EEEENST_IJLi6EEEENST_IJLi7EEEENST_IJLi8EEEENST_IJLi9ELi11ELi13EEEENST_IJLi10ELi12ELi14EEEENST_IJLi15EEEENST_IJLi16EEEENST_IJLi18EEEENST_IJLi17EEEEEEENS5_IJNST_IJLi1ELi2ELi3ELi4EEEESZ_S10_S11_S12_NST_IJLi9EEEENST_IJLi10ELi11EEEENST_IJLi12ELi13EEEENST_IJLi14EEEES15_S16_S18_S17_NST_IJLi19ELi20EEEENST_IJLi21EEEEEEENST_IJLi19ELi21ELi20EEEElEENSB_INS5_IJSR_SP_SP_SR_SG_EEENS5_IJSU_SV_SW_SY_SX_EEENS5_IJNST_IJLi1ELi2EEEESX_SY_NST_IJLi5ELi6EEEES11_EEENST_IJLi5ELi7ELi6EEEElEENSB_INS5_IJSK_SP_SP_EEENS5_IJSU_SV_SW_EEENS5_IJS1M_SX_SY_EEENST_IJLi3ELi4EEEElEELi128ELi128ELi16ELi1ELi4ELi4ELi1ENST_IJLi8ELi2EEEES1W_NST_IJLi8ELi1ELi1ELi1EEEENST_IJLi2ELi1ELi128ELi1EEEENST_IJLi1ELi2ELi0ELi3EEEES1Z_NST_IJLi4ELi1ELi1ELi1EEEES1Z_NST_IJLi1ELi1ELi1ELi1EEEES1X_S1Y_S1Z_S1Z_S20_S1Z_S21_NST_IJLi0ELi1ELi2ELi3ELi4ELi5EEEELi5ELi4EEEfNS5_IJPKfEEEfS8_S8_S9_NSB_INS5_IJSE_SG_SI_SI_SG_SG_SK_SK_SG_SN_SN_SP_SP_SR_SG_SG_NSQ_INS5_IJiNS_17integral_constantIiLi128EEEEEELb0EEENSF_INS27_IiLi1EEEEEEEENS5_IJSU_SV_SW_SX_SY_SZ_S10_S11_S12_S13_S14_S15_S16_S17_S18_NST_IJLi19EEEES1G_NST_IJLi20EEEEEEENS5_IJS1A_SZ_S10_S11_S12_S1B_S1C_S1D_S1E_S15_S16_S18_S17_S1F_S1G_NST_IJLi22EEEENST_IJLi23ELi24EEEENST_IJLi25EEEEEEENST_IJLi22ELi23ELi24ELi25EEEElEENSB_INS5_IJSR_SP_SP_SR_SG_SG_S2A_S2C_EEENS5_IJSU_SV_SW_SY_SX_SZ_S11_S10_EEENS5_IJS1M_SX_SY_S1N_S11_S12_NST_IJLi9ELi10EEEENST_IJLi11EEEEEEENST_IJLi8ELi9ELi10ELi11EEEElEENS5_IJNSB_INS5_IJSK_SP_SP_NSQ_INS5_IJiNS27_IiLi2EEENS27_IiLi64EEEEEELb0EEES2X_EEENS5_IJSU_SV_SW_SX_SY_EEENS5_IJS1M_SX_SY_NST_IJLi5ELi6ELi7EEEENST_IJLi8ELi9ELi10EEEEEEENST_IJLi5ELi6ELi7ELi8ELi9ELi10EEEElEEEEES34_NS_31BlockToCTileMap_M00_N00_M01_N01ILi128ELi128ES1V_Lb0EEENS1_30ComputePtrOffsetOfStridedBatchILi1ELi1ELi1EvEELb1ELb1EEEvPKT0_S3C_T1_PT2_T3_T4_T5_iT6_T7_T8_T9_T10_T11_
	.p2align	8
	.type	_ZN2ck16tensor_operation6device12_GLOBAL__N_137kernel_grouped_conv_fwd_dl_multiple_dINS_32GridwiseGemmDlMultipleD_km_kn_mnILi256EffNS_5TupleIJfEEEfNS0_12element_wise11PassThroughES8_NS7_7AddReluELNS_25InMemoryDataOperationEnumE0ENS_16TensorDescriptorINS5_IJNS_5EmbedINS5_IJiiiiEEESD_Lb0EEENS_11PassThroughIiEENS_3PadIiiiLb0EEESI_SG_SG_NSC_INS5_IJiiEEESJ_Lb0EEESK_SG_NS_23Merge_v2_magic_divisionINS5_IJiiiEEEEESN_NS_8RightPadIiiLb0EEESP_NS_7UnMergeISJ_Lb0EEESG_EEENS5_IJNS_8SequenceIJLi0EEEENST_IJLi1EEEENST_IJLi2EEEENST_IJLi3EEEENST_IJLi4EEEENST_IJLi5EEEENST_IJLi6EEEENST_IJLi7EEEENST_IJLi8EEEENST_IJLi9ELi11ELi13EEEENST_IJLi10ELi12ELi14EEEENST_IJLi15EEEENST_IJLi16EEEENST_IJLi18EEEENST_IJLi17EEEEEEENS5_IJNST_IJLi1ELi2ELi3ELi4EEEESZ_S10_S11_S12_NST_IJLi9EEEENST_IJLi10ELi11EEEENST_IJLi12ELi13EEEENST_IJLi14EEEES15_S16_S18_S17_NST_IJLi19ELi20EEEENST_IJLi21EEEEEEENST_IJLi19ELi21ELi20EEEElEENSB_INS5_IJSR_SP_SP_SR_SG_EEENS5_IJSU_SV_SW_SY_SX_EEENS5_IJNST_IJLi1ELi2EEEESX_SY_NST_IJLi5ELi6EEEES11_EEENST_IJLi5ELi7ELi6EEEElEENSB_INS5_IJSK_SP_SP_EEENS5_IJSU_SV_SW_EEENS5_IJS1M_SX_SY_EEENST_IJLi3ELi4EEEElEELi128ELi128ELi16ELi1ELi4ELi4ELi1ENST_IJLi8ELi2EEEES1W_NST_IJLi8ELi1ELi1ELi1EEEENST_IJLi2ELi1ELi128ELi1EEEENST_IJLi1ELi2ELi0ELi3EEEES1Z_NST_IJLi4ELi1ELi1ELi1EEEES1Z_NST_IJLi1ELi1ELi1ELi1EEEES1X_S1Y_S1Z_S1Z_S20_S1Z_S21_NST_IJLi0ELi1ELi2ELi3ELi4ELi5EEEELi5ELi4EEEfNS5_IJPKfEEEfS8_S8_S9_NSB_INS5_IJSE_SG_SI_SI_SG_SG_SK_SK_SG_SN_SN_SP_SP_SR_SG_SG_NSQ_INS5_IJiNS_17integral_constantIiLi128EEEEEELb0EEENSF_INS27_IiLi1EEEEEEEENS5_IJSU_SV_SW_SX_SY_SZ_S10_S11_S12_S13_S14_S15_S16_S17_S18_NST_IJLi19EEEES1G_NST_IJLi20EEEEEEENS5_IJS1A_SZ_S10_S11_S12_S1B_S1C_S1D_S1E_S15_S16_S18_S17_S1F_S1G_NST_IJLi22EEEENST_IJLi23ELi24EEEENST_IJLi25EEEEEEENST_IJLi22ELi23ELi24ELi25EEEElEENSB_INS5_IJSR_SP_SP_SR_SG_SG_S2A_S2C_EEENS5_IJSU_SV_SW_SY_SX_SZ_S11_S10_EEENS5_IJS1M_SX_SY_S1N_S11_S12_NST_IJLi9ELi10EEEENST_IJLi11EEEEEEENST_IJLi8ELi9ELi10ELi11EEEElEENS5_IJNSB_INS5_IJSK_SP_SP_NSQ_INS5_IJiNS27_IiLi2EEENS27_IiLi64EEEEEELb0EEES2X_EEENS5_IJSU_SV_SW_SX_SY_EEENS5_IJS1M_SX_SY_NST_IJLi5ELi6ELi7EEEENST_IJLi8ELi9ELi10EEEEEEENST_IJLi5ELi6ELi7ELi8ELi9ELi10EEEElEEEEES34_NS_31BlockToCTileMap_M00_N00_M01_N01ILi128ELi128ES1V_Lb0EEENS1_30ComputePtrOffsetOfStridedBatchILi1ELi1ELi1EvEELb1ELb1EEEvPKT0_S3C_T1_PT2_T3_T4_T5_iT6_T7_T8_T9_T10_T11_,@function
_ZN2ck16tensor_operation6device12_GLOBAL__N_137kernel_grouped_conv_fwd_dl_multiple_dINS_32GridwiseGemmDlMultipleD_km_kn_mnILi256EffNS_5TupleIJfEEEfNS0_12element_wise11PassThroughES8_NS7_7AddReluELNS_25InMemoryDataOperationEnumE0ENS_16TensorDescriptorINS5_IJNS_5EmbedINS5_IJiiiiEEESD_Lb0EEENS_11PassThroughIiEENS_3PadIiiiLb0EEESI_SG_SG_NSC_INS5_IJiiEEESJ_Lb0EEESK_SG_NS_23Merge_v2_magic_divisionINS5_IJiiiEEEEESN_NS_8RightPadIiiLb0EEESP_NS_7UnMergeISJ_Lb0EEESG_EEENS5_IJNS_8SequenceIJLi0EEEENST_IJLi1EEEENST_IJLi2EEEENST_IJLi3EEEENST_IJLi4EEEENST_IJLi5EEEENST_IJLi6EEEENST_IJLi7EEEENST_IJLi8EEEENST_IJLi9ELi11ELi13EEEENST_IJLi10ELi12ELi14EEEENST_IJLi15EEEENST_IJLi16EEEENST_IJLi18EEEENST_IJLi17EEEEEEENS5_IJNST_IJLi1ELi2ELi3ELi4EEEESZ_S10_S11_S12_NST_IJLi9EEEENST_IJLi10ELi11EEEENST_IJLi12ELi13EEEENST_IJLi14EEEES15_S16_S18_S17_NST_IJLi19ELi20EEEENST_IJLi21EEEEEEENST_IJLi19ELi21ELi20EEEElEENSB_INS5_IJSR_SP_SP_SR_SG_EEENS5_IJSU_SV_SW_SY_SX_EEENS5_IJNST_IJLi1ELi2EEEESX_SY_NST_IJLi5ELi6EEEES11_EEENST_IJLi5ELi7ELi6EEEElEENSB_INS5_IJSK_SP_SP_EEENS5_IJSU_SV_SW_EEENS5_IJS1M_SX_SY_EEENST_IJLi3ELi4EEEElEELi128ELi128ELi16ELi1ELi4ELi4ELi1ENST_IJLi8ELi2EEEES1W_NST_IJLi8ELi1ELi1ELi1EEEENST_IJLi2ELi1ELi128ELi1EEEENST_IJLi1ELi2ELi0ELi3EEEES1Z_NST_IJLi4ELi1ELi1ELi1EEEES1Z_NST_IJLi1ELi1ELi1ELi1EEEES1X_S1Y_S1Z_S1Z_S20_S1Z_S21_NST_IJLi0ELi1ELi2ELi3ELi4ELi5EEEELi5ELi4EEEfNS5_IJPKfEEEfS8_S8_S9_NSB_INS5_IJSE_SG_SI_SI_SG_SG_SK_SK_SG_SN_SN_SP_SP_SR_SG_SG_NSQ_INS5_IJiNS_17integral_constantIiLi128EEEEEELb0EEENSF_INS27_IiLi1EEEEEEEENS5_IJSU_SV_SW_SX_SY_SZ_S10_S11_S12_S13_S14_S15_S16_S17_S18_NST_IJLi19EEEES1G_NST_IJLi20EEEEEEENS5_IJS1A_SZ_S10_S11_S12_S1B_S1C_S1D_S1E_S15_S16_S18_S17_S1F_S1G_NST_IJLi22EEEENST_IJLi23ELi24EEEENST_IJLi25EEEEEEENST_IJLi22ELi23ELi24ELi25EEEElEENSB_INS5_IJSR_SP_SP_SR_SG_SG_S2A_S2C_EEENS5_IJSU_SV_SW_SY_SX_SZ_S11_S10_EEENS5_IJS1M_SX_SY_S1N_S11_S12_NST_IJLi9ELi10EEEENST_IJLi11EEEEEEENST_IJLi8ELi9ELi10ELi11EEEElEENS5_IJNSB_INS5_IJSK_SP_SP_NSQ_INS5_IJiNS27_IiLi2EEENS27_IiLi64EEEEEELb0EEES2X_EEENS5_IJSU_SV_SW_SX_SY_EEENS5_IJS1M_SX_SY_NST_IJLi5ELi6ELi7EEEENST_IJLi8ELi9ELi10EEEEEEENST_IJLi5ELi6ELi7ELi8ELi9ELi10EEEElEEEEES34_NS_31BlockToCTileMap_M00_N00_M01_N01ILi128ELi128ES1V_Lb0EEENS1_30ComputePtrOffsetOfStridedBatchILi1ELi1ELi1EvEELb1ELb1EEEvPKT0_S3C_T1_PT2_T3_T4_T5_iT6_T7_T8_T9_T10_T11_: ; @_ZN2ck16tensor_operation6device12_GLOBAL__N_137kernel_grouped_conv_fwd_dl_multiple_dINS_32GridwiseGemmDlMultipleD_km_kn_mnILi256EffNS_5TupleIJfEEEfNS0_12element_wise11PassThroughES8_NS7_7AddReluELNS_25InMemoryDataOperationEnumE0ENS_16TensorDescriptorINS5_IJNS_5EmbedINS5_IJiiiiEEESD_Lb0EEENS_11PassThroughIiEENS_3PadIiiiLb0EEESI_SG_SG_NSC_INS5_IJiiEEESJ_Lb0EEESK_SG_NS_23Merge_v2_magic_divisionINS5_IJiiiEEEEESN_NS_8RightPadIiiLb0EEESP_NS_7UnMergeISJ_Lb0EEESG_EEENS5_IJNS_8SequenceIJLi0EEEENST_IJLi1EEEENST_IJLi2EEEENST_IJLi3EEEENST_IJLi4EEEENST_IJLi5EEEENST_IJLi6EEEENST_IJLi7EEEENST_IJLi8EEEENST_IJLi9ELi11ELi13EEEENST_IJLi10ELi12ELi14EEEENST_IJLi15EEEENST_IJLi16EEEENST_IJLi18EEEENST_IJLi17EEEEEEENS5_IJNST_IJLi1ELi2ELi3ELi4EEEESZ_S10_S11_S12_NST_IJLi9EEEENST_IJLi10ELi11EEEENST_IJLi12ELi13EEEENST_IJLi14EEEES15_S16_S18_S17_NST_IJLi19ELi20EEEENST_IJLi21EEEEEEENST_IJLi19ELi21ELi20EEEElEENSB_INS5_IJSR_SP_SP_SR_SG_EEENS5_IJSU_SV_SW_SY_SX_EEENS5_IJNST_IJLi1ELi2EEEESX_SY_NST_IJLi5ELi6EEEES11_EEENST_IJLi5ELi7ELi6EEEElEENSB_INS5_IJSK_SP_SP_EEENS5_IJSU_SV_SW_EEENS5_IJS1M_SX_SY_EEENST_IJLi3ELi4EEEElEELi128ELi128ELi16ELi1ELi4ELi4ELi1ENST_IJLi8ELi2EEEES1W_NST_IJLi8ELi1ELi1ELi1EEEENST_IJLi2ELi1ELi128ELi1EEEENST_IJLi1ELi2ELi0ELi3EEEES1Z_NST_IJLi4ELi1ELi1ELi1EEEES1Z_NST_IJLi1ELi1ELi1ELi1EEEES1X_S1Y_S1Z_S1Z_S20_S1Z_S21_NST_IJLi0ELi1ELi2ELi3ELi4ELi5EEEELi5ELi4EEEfNS5_IJPKfEEEfS8_S8_S9_NSB_INS5_IJSE_SG_SI_SI_SG_SG_SK_SK_SG_SN_SN_SP_SP_SR_SG_SG_NSQ_INS5_IJiNS_17integral_constantIiLi128EEEEEELb0EEENSF_INS27_IiLi1EEEEEEEENS5_IJSU_SV_SW_SX_SY_SZ_S10_S11_S12_S13_S14_S15_S16_S17_S18_NST_IJLi19EEEES1G_NST_IJLi20EEEEEEENS5_IJS1A_SZ_S10_S11_S12_S1B_S1C_S1D_S1E_S15_S16_S18_S17_S1F_S1G_NST_IJLi22EEEENST_IJLi23ELi24EEEENST_IJLi25EEEEEEENST_IJLi22ELi23ELi24ELi25EEEElEENSB_INS5_IJSR_SP_SP_SR_SG_SG_S2A_S2C_EEENS5_IJSU_SV_SW_SY_SX_SZ_S11_S10_EEENS5_IJS1M_SX_SY_S1N_S11_S12_NST_IJLi9ELi10EEEENST_IJLi11EEEEEEENST_IJLi8ELi9ELi10ELi11EEEElEENS5_IJNSB_INS5_IJSK_SP_SP_NSQ_INS5_IJiNS27_IiLi2EEENS27_IiLi64EEEEEELb0EEES2X_EEENS5_IJSU_SV_SW_SX_SY_EEENS5_IJS1M_SX_SY_NST_IJLi5ELi6ELi7EEEENST_IJLi8ELi9ELi10EEEEEEENST_IJLi5ELi6ELi7ELi8ELi9ELi10EEEElEEEEES34_NS_31BlockToCTileMap_M00_N00_M01_N01ILi128ELi128ES1V_Lb0EEENS1_30ComputePtrOffsetOfStridedBatchILi1ELi1ELi1EvEELb1ELb1EEEvPKT0_S3C_T1_PT2_T3_T4_T5_iT6_T7_T8_T9_T10_T11_
; %bb.0:
	s_clause 0x3
	s_load_b256 s[44:51], s[0:1], 0x108
	s_load_b256 s[52:59], s[0:1], 0xe8
	;; [unrolled: 1-line block ×4, first 2 shown]
	s_mov_b64 s[2:3], src_private_base
	s_clause 0x5
	s_load_b256 s[4:11], s[0:1], 0x0
	s_load_b32 s2, s[0:1], 0x24
	s_load_b256 s[16:23], s[0:1], 0x28
	s_load_b256 s[76:83], s[0:1], 0x88
	;; [unrolled: 1-line block ×4, first 2 shown]
	s_mov_b32 s12, s15
	s_movk_i32 s32, 0x280
	s_waitcnt lgkmcnt(0)
	v_dual_mov_b32 v1, s48 :: v_dual_mov_b32 v2, s49
	v_dual_mov_b32 v3, s50 :: v_dual_mov_b32 v4, s51
	;; [unrolled: 1-line block ×16, first 2 shown]
	s_clause 0x7
	scratch_store_b128 off, v[1:4], off offset:240
	scratch_store_b128 off, v[5:8], off offset:224
	;; [unrolled: 1-line block ×8, first 2 shown]
	s_load_b64 s[14:15], s[0:1], 0x128
	s_abs_i32 s13, s2
	s_load_b256 s[44:51], s[0:1], 0x130
	v_cvt_f32_u32_e32 v25, s13
	v_dual_mov_b32 v1, s80 :: v_dual_mov_b32 v2, s81
	v_dual_mov_b32 v3, s82 :: v_dual_mov_b32 v4, s83
	s_delay_alu instid0(VALU_DEP_3)
	v_rcp_iflag_f32_e32 v25, v25
	v_dual_mov_b32 v5, s76 :: v_dual_mov_b32 v6, s77
	v_dual_mov_b32 v7, s78 :: v_dual_mov_b32 v8, s79
	;; [unrolled: 1-line block ×10, first 2 shown]
	s_clause 0x5
	scratch_store_b128 off, v[1:4], off offset:112
	scratch_store_b128 off, v[5:8], off offset:96
	;; [unrolled: 1-line block ×6, first 2 shown]
	v_dual_mov_b32 v1, s20 :: v_dual_mov_b32 v2, s21
	v_dual_mov_b32 v3, s22 :: v_dual_mov_b32 v4, s23
	;; [unrolled: 1-line block ×3, first 2 shown]
	s_waitcnt lgkmcnt(0)
	v_dual_mov_b32 v9, s14 :: v_dual_mov_b32 v10, s15
	s_load_b32 s14, s[0:1], 0x2c8
	v_dual_mov_b32 v7, s18 :: v_dual_mov_b32 v8, s19
	v_mul_f32_e32 v11, 0x4f7ffffe, v25
	s_load_b256 s[24:31], s[0:1], 0x150
	s_clause 0x2
	scratch_store_b128 off, v[1:4], off offset:16
	scratch_store_b128 off, v[5:8], off
	scratch_store_b64 off, v[9:10], off offset:256
	v_dual_mov_b32 v1, s44 :: v_dual_mov_b32 v4, s47
	v_mov_b32_e32 v2, s45
	v_cvt_u32_f32_e32 v17, v11
	s_sub_i32 s16, 0, s13
	v_dual_mov_b32 v5, s48 :: v_dual_mov_b32 v8, s51
	v_mov_b32_e32 v7, s50
	s_delay_alu instid0(VALU_DEP_3)
	v_readfirstlane_b32 s15, v17
	v_dual_mov_b32 v3, s46 :: v_dual_mov_b32 v6, s49
	s_clause 0x1
	s_load_b256 s[44:51], s[0:1], 0x1b0
	s_load_b256 s[36:43], s[0:1], 0x190
	s_mul_i32 s33, s16, s15
	s_waitcnt lgkmcnt(0)
	s_abs_i32 s34, s14
	s_mul_hi_u32 s33, s15, s33
	s_xor_b32 s2, s14, s2
	s_add_i32 s15, s15, s33
	v_dual_mov_b32 v9, s24 :: v_dual_mov_b32 v12, s27
	v_dual_mov_b32 v13, s28 :: v_dual_mov_b32 v16, s31
	s_mul_hi_u32 s15, s34, s15
	v_dual_mov_b32 v10, s25 :: v_dual_mov_b32 v11, s26
	v_dual_mov_b32 v14, s29 :: v_dual_mov_b32 v15, s30
	s_load_b256 s[24:31], s[0:1], 0x170
	s_mul_i32 s14, s15, s13
	s_load_b256 s[16:23], s[0:1], 0x1d0
	s_sub_i32 s14, s34, s14
	s_ashr_i32 s2, s2, 31
	s_add_i32 s33, s15, 1
	s_sub_i32 s34, s14, s13
	s_cmp_ge_u32 s14, s13
	s_load_b256 s[52:59], s[0:1], 0x210
	s_cselect_b32 s15, s33, s15
	s_cselect_b32 s14, s34, s14
	s_add_i32 s33, s15, 1
	s_cmp_ge_u32 s14, s13
	s_clause 0x1
	scratch_store_b128 off, v[1:4], off offset:264
	scratch_store_b128 off, v[5:8], off offset:280
	s_cselect_b32 s13, s33, s15
	s_abs_i32 s33, s12
	s_xor_b32 s13, s13, s2
	s_delay_alu instid0(SALU_CYCLE_1) | instskip(NEXT) | instid1(SALU_CYCLE_1)
	s_sub_i32 s2, s13, s2
	s_abs_i32 s13, s2
	s_waitcnt lgkmcnt(0)
	v_dual_mov_b32 v1, s24 :: v_dual_mov_b32 v4, s27
	v_mov_b32_e32 v2, s25
	s_clause 0x1
	scratch_store_b128 off, v[9:12], off offset:296
	scratch_store_b128 off, v[13:16], off offset:312
	v_cvt_f32_u32_e32 v13, s13
	v_mov_b32_e32 v3, s26
	v_dual_mov_b32 v5, s28 :: v_dual_mov_b32 v8, s31
	v_dual_mov_b32 v9, s16 :: v_dual_mov_b32 v12, s19
	;; [unrolled: 1-line block ×4, first 2 shown]
	v_rcp_iflag_f32_e32 v21, v13
	s_clause 0x1
	scratch_store_b128 off, v[1:4], off offset:328
	scratch_store_b128 off, v[5:8], off offset:344
	v_dual_mov_b32 v1, s48 :: v_dual_mov_b32 v4, s51
	v_mov_b32_e32 v2, s49
	scratch_store_b128 off, v[9:12], off offset:424
	v_mov_b32_e32 v3, s50
	v_dual_mov_b32 v5, s44 :: v_dual_mov_b32 v8, s47
	v_dual_mov_b32 v9, s40 :: v_dual_mov_b32 v12, s43
	;; [unrolled: 1-line block ×7, first 2 shown]
	s_load_b256 s[24:31], s[0:1], 0x1f0
	v_dual_mov_b32 v18, s57 :: v_dual_mov_b32 v19, s58
	s_clause 0x1
	scratch_store_b128 off, v[1:4], off offset:408
	scratch_store_b128 off, v[5:8], off offset:392
	v_dual_mov_b32 v1, s52 :: v_dual_mov_b32 v2, s53
	s_clause 0x2
	scratch_store_b128 off, v[9:12], off offset:376
	scratch_store_b128 off, v[13:16], off offset:360
	;; [unrolled: 1-line block ×3, first 2 shown]
	v_dual_mul_f32 v17, 0x4f7ffffe, v21 :: v_dual_mov_b32 v4, s55
	s_load_b128 s[16:19], s[0:1], 0x290
	s_sub_i32 s15, 0, s13
	v_mov_b32_e32 v3, s54
	s_delay_alu instid0(VALU_DEP_2) | instskip(SKIP_2) | instid1(VALU_DEP_3)
	v_cvt_u32_f32_e32 v17, v17
	v_dual_mov_b32 v13, s20 :: v_dual_mov_b32 v14, s21
	v_dual_mov_b32 v15, s22 :: v_dual_mov_b32 v16, s23
	v_readfirstlane_b32 s14, v17
	s_load_b256 s[36:43], s[0:1], 0x270
	s_xor_b32 s2, s12, s2
	s_waitcnt lgkmcnt(0)
	v_dual_mov_b32 v5, s28 :: v_dual_mov_b32 v6, s29
	s_mul_i32 s15, s15, s14
	v_mov_b32_e32 v7, s30
	s_mul_hi_u32 s15, s14, s15
	v_dual_mov_b32 v8, s31 :: v_dual_mov_b32 v9, s24
	v_dual_mov_b32 v10, s25 :: v_dual_mov_b32 v11, s26
	v_mov_b32_e32 v12, s27
	s_add_i32 s14, s14, s15
	s_clause 0x3
	scratch_store_b128 off, v[1:4], off offset:488
	scratch_store_b128 off, v[5:8], off offset:472
	;; [unrolled: 1-line block ×4, first 2 shown]
	s_mul_hi_u32 s14, s33, s14
	v_dual_mov_b32 v1, s16 :: v_dual_mov_b32 v2, s17
	v_dual_mov_b32 v3, s18 :: v_dual_mov_b32 v4, s19
	s_clause 0x2
	s_load_b256 s[24:31], s[0:1], 0x230
	s_load_b256 s[44:51], s[0:1], 0x250
	;; [unrolled: 1-line block ×3, first 2 shown]
	s_mul_i32 s15, s14, s13
	s_ashr_i32 s2, s2, 31
	s_sub_i32 s15, s33, s15
	s_add_i32 s33, s14, 1
	s_sub_i32 s34, s15, s13
	s_cmp_ge_u32 s15, s13
	scratch_store_b128 off, v[1:4], off offset:616
	s_cselect_b32 s14, s33, s14
	s_cselect_b32 s15, s34, s15
	s_add_i32 s33, s14, 1
	s_cmp_ge_u32 s15, s13
	s_mov_b32 s15, 0
	s_cselect_b32 s13, s33, s14
	v_mov_b32_e32 v1, s40
	s_xor_b32 s13, s13, s2
	v_mov_b32_e32 v2, s41
	s_sub_i32 s2, s13, s2
	s_waitcnt lgkmcnt(0)
	v_mov_b32_e32 v9, s28
	s_ashr_i32 s13, s2, 31
	v_mov_b32_e32 v13, s24
	v_dual_mov_b32 v11, s30 :: v_dual_mov_b32 v16, s27
	v_dual_mov_b32 v14, s25 :: v_dual_mov_b32 v15, s26
	s_mul_i32 s14, s16, s13
	s_mul_hi_u32 s24, s16, s2
	s_mul_i32 s17, s17, s2
	s_add_i32 s14, s24, s14
	s_mul_i32 s24, s18, s13
	s_mul_hi_u32 s25, s18, s2
	s_add_i32 s26, s14, s17
	s_add_i32 s17, s25, s24
	s_mul_i32 s19, s19, s2
	s_mul_i32 s14, s16, s2
	s_add_i32 s24, s17, s19
	s_mul_i32 s16, s22, s13
	s_mul_i32 s13, s20, s13
	s_mul_hi_u32 s17, s20, s2
	s_mul_hi_u32 s19, s22, s2
	s_add_i32 s13, s17, s13
	s_mul_i32 s17, s21, s2
	s_add_i32 s19, s19, s16
	s_add_i32 s17, s13, s17
	s_mul_i32 s16, s20, s2
	s_mul_i32 s13, s23, s2
	s_lshl_b64 s[16:17], s[16:17], 2
	s_add_i32 s13, s19, s13
	s_add_u32 s20, s8, s16
	s_addc_u32 s21, s9, s17
	s_lshl_b32 s9, s26, 2
	s_mov_b32 s8, s15
	s_lshl_b64 s[16:17], s[14:15], 2
	s_mul_i32 s18, s18, s2
	s_or_b64 s[8:9], s[8:9], s[16:17]
	s_mov_b32 s19, s15
	s_add_u32 s14, s4, s8
	s_addc_u32 s23, s5, s9
	s_lshl_b32 s5, s24, 2
	s_mov_b32 s4, s15
	s_lshl_b64 s[8:9], s[18:19], 2
	v_dual_mov_b32 v3, s42 :: v_dual_mov_b32 v4, s43
	v_dual_mov_b32 v5, s36 :: v_dual_mov_b32 v6, s37
	;; [unrolled: 1-line block ×3, first 2 shown]
	s_or_b64 s[4:5], s[4:5], s[8:9]
	s_mul_i32 s16, s22, s2
	s_mov_b32 s17, s15
	s_add_u32 s2, s6, s4
	s_addc_u32 s18, s7, s5
	s_lshl_b32 s5, s13, 2
	s_mov_b32 s4, s15
	s_lshl_b64 s[6:7], s[16:17], 2
	s_clause 0x1
	scratch_store_b128 off, v[1:4], off offset:600
	scratch_store_b128 off, v[5:8], off offset:584
	v_mov_b32_e32 v1, s48
	v_dual_mov_b32 v5, s44 :: v_dual_mov_b32 v10, s29
	v_dual_mov_b32 v2, s49 :: v_dual_mov_b32 v3, s50
	v_mov_b32_e32 v8, s47
	v_dual_mov_b32 v4, s51 :: v_dual_mov_b32 v7, s46
	v_mov_b32_e32 v12, s31
	s_or_b64 s[4:5], s[4:5], s[6:7]
	v_mov_b32_e32 v6, s45
	s_add_u32 s4, s10, s4
	s_addc_u32 s5, s11, s5
	s_clause 0x1
	scratch_store_b128 off, v[1:4], off offset:568
	scratch_store_b128 off, v[5:8], off offset:552
	v_dual_mov_b32 v31, v0 :: v_dual_mov_b32 v4, s20
	v_dual_mov_b32 v0, s14 :: v_dual_mov_b32 v1, s23
	v_mov_b32_e32 v6, s4
	v_mov_b32_e32 v2, s2
	s_clause 0x1
	scratch_store_b128 off, v[9:12], off offset:536
	scratch_store_b128 off, v[13:16], off offset:520
	v_dual_mov_b32 v3, s18 :: v_dual_mov_b32 v8, 0
	v_dual_mov_b32 v5, s21 :: v_dual_mov_b32 v10, 0x108
	;; [unrolled: 1-line block ×5, first 2 shown]
	v_mov_b32_e32 v13, s3
	v_mov_b32_e32 v15, s3
	;; [unrolled: 1-line block ×3, first 2 shown]
	s_add_u32 s8, s0, 0x2c8
	s_addc_u32 s9, s1, 0
	s_getpc_b64 s[0:1]
	s_add_u32 s0, s0, _ZN2ck32GridwiseGemmDlMultipleD_km_kn_mnILi256EffNS_5TupleIJfEEEfNS_16tensor_operation12element_wise11PassThroughES5_NS4_7AddReluELNS_25InMemoryDataOperationEnumE0ENS_16TensorDescriptorINS1_IJNS_5EmbedINS1_IJiiiiEEESA_Lb0EEENS_11PassThroughIiEENS_3PadIiiiLb0EEESF_SD_SD_NS9_INS1_IJiiEEESG_Lb0EEESH_SD_NS_23Merge_v2_magic_divisionINS1_IJiiiEEEEESK_NS_8RightPadIiiLb0EEESM_NS_7UnMergeISG_Lb0EEESD_EEENS1_IJNS_8SequenceIJLi0EEEENSQ_IJLi1EEEENSQ_IJLi2EEEENSQ_IJLi3EEEENSQ_IJLi4EEEENSQ_IJLi5EEEENSQ_IJLi6EEEENSQ_IJLi7EEEENSQ_IJLi8EEEENSQ_IJLi9ELi11ELi13EEEENSQ_IJLi10ELi12ELi14EEEENSQ_IJLi15EEEENSQ_IJLi16EEEENSQ_IJLi18EEEENSQ_IJLi17EEEEEEENS1_IJNSQ_IJLi1ELi2ELi3ELi4EEEESW_SX_SY_SZ_NSQ_IJLi9EEEENSQ_IJLi10ELi11EEEENSQ_IJLi12ELi13EEEENSQ_IJLi14EEEES12_S13_S15_S14_NSQ_IJLi19ELi20EEEENSQ_IJLi21EEEEEEENSQ_IJLi19ELi21ELi20EEEElEENS8_INS1_IJSO_SM_SM_SO_SD_EEENS1_IJSR_SS_ST_SV_SU_EEENS1_IJNSQ_IJLi1ELi2EEEESU_SV_NSQ_IJLi5ELi6EEEESY_EEENSQ_IJLi5ELi7ELi6EEEElEENS8_INS1_IJSH_SM_SM_EEENS1_IJSR_SS_ST_EEENS1_IJS1J_SU_SV_EEENSQ_IJLi3ELi4EEEElEELi128ELi128ELi16ELi1ELi4ELi4ELi1ENSQ_IJLi8ELi2EEEES1T_NSQ_IJLi8ELi1ELi1ELi1EEEENSQ_IJLi2ELi1ELi128ELi1EEEENSQ_IJLi1ELi2ELi0ELi3EEEES1W_NSQ_IJLi4ELi1ELi1ELi1EEEES1W_NSQ_IJLi1ELi1ELi1ELi1EEEES1U_S1V_S1W_S1W_S1X_S1W_S1Y_NSQ_IJLi0ELi1ELi2ELi3ELi4ELi5EEEELi5ELi4EE3RunINS1_IJNS8_INS1_IJSH_SM_SM_NSN_INS1_IJiNS_17integral_constantIiLi2EEENS22_IiLi64EEEEEELb0EEES26_EEENS1_IJSR_SS_ST_SU_SV_EEENS1_IJS1J_SU_SV_NSQ_IJLi5ELi6ELi7EEEENSQ_IJLi8ELi9ELi10EEEEEEENSQ_IJLi5ELi6ELi7ELi8ELi9ELi10EEEElEEEEELb1ELb1ENS_31BlockToCTileMap_M00_N00_M01_N01ILi128ELi128ES1S_Lb0EEEEEvPKfS2I_NS1_IJS2I_EEEPfPvRKS5_S2N_RKS6_RKNS8_INS1_IJSB_SD_SF_SF_SD_SD_SH_SH_SD_SK_SK_SM_SM_SO_SD_SD_NSN_INS1_IJiNS22_IiLi128EEEEEELb0EEENSC_INS22_IiLi1EEEEEEEENS1_IJSR_SS_ST_SU_SV_SW_SX_SY_SZ_S10_S11_S12_S13_S14_S15_NSQ_IJLi19EEEES1D_NSQ_IJLi20EEEEEEENS1_IJS17_SW_SX_SY_SZ_S18_S19_S1A_S1B_S12_S13_S15_S14_S1C_S1D_NSQ_IJLi22EEEENSQ_IJLi23ELi24EEEENSQ_IJLi25EEEEEEENSQ_IJLi22ELi23ELi24ELi25EEEElEERKNS8_INS1_IJSO_SM_SM_SO_SD_SD_S2S_S2U_EEENS1_IJSR_SS_ST_SV_SU_SW_SY_SX_EEENS1_IJS1J_SU_SV_S1K_SY_SZ_NSQ_IJLi9ELi10EEEENSQ_IJLi11EEEEEEENSQ_IJLi8ELi9ELi10ELi11EEEElEERKT_RKS2D_RKT2_NS22_IbXT0_EEENS22_IbXT1_EEE@rel32@lo+4
	s_addc_u32 s1, s1, _ZN2ck32GridwiseGemmDlMultipleD_km_kn_mnILi256EffNS_5TupleIJfEEEfNS_16tensor_operation12element_wise11PassThroughES5_NS4_7AddReluELNS_25InMemoryDataOperationEnumE0ENS_16TensorDescriptorINS1_IJNS_5EmbedINS1_IJiiiiEEESA_Lb0EEENS_11PassThroughIiEENS_3PadIiiiLb0EEESF_SD_SD_NS9_INS1_IJiiEEESG_Lb0EEESH_SD_NS_23Merge_v2_magic_divisionINS1_IJiiiEEEEESK_NS_8RightPadIiiLb0EEESM_NS_7UnMergeISG_Lb0EEESD_EEENS1_IJNS_8SequenceIJLi0EEEENSQ_IJLi1EEEENSQ_IJLi2EEEENSQ_IJLi3EEEENSQ_IJLi4EEEENSQ_IJLi5EEEENSQ_IJLi6EEEENSQ_IJLi7EEEENSQ_IJLi8EEEENSQ_IJLi9ELi11ELi13EEEENSQ_IJLi10ELi12ELi14EEEENSQ_IJLi15EEEENSQ_IJLi16EEEENSQ_IJLi18EEEENSQ_IJLi17EEEEEEENS1_IJNSQ_IJLi1ELi2ELi3ELi4EEEESW_SX_SY_SZ_NSQ_IJLi9EEEENSQ_IJLi10ELi11EEEENSQ_IJLi12ELi13EEEENSQ_IJLi14EEEES12_S13_S15_S14_NSQ_IJLi19ELi20EEEENSQ_IJLi21EEEEEEENSQ_IJLi19ELi21ELi20EEEElEENS8_INS1_IJSO_SM_SM_SO_SD_EEENS1_IJSR_SS_ST_SV_SU_EEENS1_IJNSQ_IJLi1ELi2EEEESU_SV_NSQ_IJLi5ELi6EEEESY_EEENSQ_IJLi5ELi7ELi6EEEElEENS8_INS1_IJSH_SM_SM_EEENS1_IJSR_SS_ST_EEENS1_IJS1J_SU_SV_EEENSQ_IJLi3ELi4EEEElEELi128ELi128ELi16ELi1ELi4ELi4ELi1ENSQ_IJLi8ELi2EEEES1T_NSQ_IJLi8ELi1ELi1ELi1EEEENSQ_IJLi2ELi1ELi128ELi1EEEENSQ_IJLi1ELi2ELi0ELi3EEEES1W_NSQ_IJLi4ELi1ELi1ELi1EEEES1W_NSQ_IJLi1ELi1ELi1ELi1EEEES1U_S1V_S1W_S1W_S1X_S1W_S1Y_NSQ_IJLi0ELi1ELi2ELi3ELi4ELi5EEEELi5ELi4EE3RunINS1_IJNS8_INS1_IJSH_SM_SM_NSN_INS1_IJiNS_17integral_constantIiLi2EEENS22_IiLi64EEEEEELb0EEES26_EEENS1_IJSR_SS_ST_SU_SV_EEENS1_IJS1J_SU_SV_NSQ_IJLi5ELi6ELi7EEEENSQ_IJLi8ELi9ELi10EEEEEEENSQ_IJLi5ELi6ELi7ELi8ELi9ELi10EEEElEEEEELb1ELb1ENS_31BlockToCTileMap_M00_N00_M01_N01ILi128ELi128ES1S_Lb0EEEEEvPKfS2I_NS1_IJS2I_EEEPfPvRKS5_S2N_RKS6_RKNS8_INS1_IJSB_SD_SF_SF_SD_SD_SH_SH_SD_SK_SK_SM_SM_SO_SD_SD_NSN_INS1_IJiNS22_IiLi128EEEEEELb0EEENSC_INS22_IiLi1EEEEEEEENS1_IJSR_SS_ST_SU_SV_SW_SX_SY_SZ_S10_S11_S12_S13_S14_S15_NSQ_IJLi19EEEES1D_NSQ_IJLi20EEEEEEENS1_IJS17_SW_SX_SY_SZ_S18_S19_S1A_S1B_S12_S13_S15_S14_S1C_S1D_NSQ_IJLi22EEEENSQ_IJLi23ELi24EEEENSQ_IJLi25EEEEEEENSQ_IJLi22ELi23ELi24ELi25EEEElEERKNS8_INS1_IJSO_SM_SM_SO_SD_SD_S2S_S2U_EEENS1_IJSR_SS_ST_SV_SU_SW_SY_SX_EEENS1_IJS1J_SU_SV_S1K_SY_SZ_NSQ_IJLi9ELi10EEEENSQ_IJLi11EEEEEEENSQ_IJLi8ELi9ELi10ELi11EEEElEERKT_RKS2D_RKT2_NS22_IbXT0_EEENS22_IbXT1_EEE@rel32@hi+12
	s_delay_alu instid0(SALU_CYCLE_1)
	s_swappc_b64 s[30:31], s[0:1]
	s_endpgm
	.section	.rodata,"a",@progbits
	.p2align	6, 0x0
	.amdhsa_kernel _ZN2ck16tensor_operation6device12_GLOBAL__N_137kernel_grouped_conv_fwd_dl_multiple_dINS_32GridwiseGemmDlMultipleD_km_kn_mnILi256EffNS_5TupleIJfEEEfNS0_12element_wise11PassThroughES8_NS7_7AddReluELNS_25InMemoryDataOperationEnumE0ENS_16TensorDescriptorINS5_IJNS_5EmbedINS5_IJiiiiEEESD_Lb0EEENS_11PassThroughIiEENS_3PadIiiiLb0EEESI_SG_SG_NSC_INS5_IJiiEEESJ_Lb0EEESK_SG_NS_23Merge_v2_magic_divisionINS5_IJiiiEEEEESN_NS_8RightPadIiiLb0EEESP_NS_7UnMergeISJ_Lb0EEESG_EEENS5_IJNS_8SequenceIJLi0EEEENST_IJLi1EEEENST_IJLi2EEEENST_IJLi3EEEENST_IJLi4EEEENST_IJLi5EEEENST_IJLi6EEEENST_IJLi7EEEENST_IJLi8EEEENST_IJLi9ELi11ELi13EEEENST_IJLi10ELi12ELi14EEEENST_IJLi15EEEENST_IJLi16EEEENST_IJLi18EEEENST_IJLi17EEEEEEENS5_IJNST_IJLi1ELi2ELi3ELi4EEEESZ_S10_S11_S12_NST_IJLi9EEEENST_IJLi10ELi11EEEENST_IJLi12ELi13EEEENST_IJLi14EEEES15_S16_S18_S17_NST_IJLi19ELi20EEEENST_IJLi21EEEEEEENST_IJLi19ELi21ELi20EEEElEENSB_INS5_IJSR_SP_SP_SR_SG_EEENS5_IJSU_SV_SW_SY_SX_EEENS5_IJNST_IJLi1ELi2EEEESX_SY_NST_IJLi5ELi6EEEES11_EEENST_IJLi5ELi7ELi6EEEElEENSB_INS5_IJSK_SP_SP_EEENS5_IJSU_SV_SW_EEENS5_IJS1M_SX_SY_EEENST_IJLi3ELi4EEEElEELi128ELi128ELi16ELi1ELi4ELi4ELi1ENST_IJLi8ELi2EEEES1W_NST_IJLi8ELi1ELi1ELi1EEEENST_IJLi2ELi1ELi128ELi1EEEENST_IJLi1ELi2ELi0ELi3EEEES1Z_NST_IJLi4ELi1ELi1ELi1EEEES1Z_NST_IJLi1ELi1ELi1ELi1EEEES1X_S1Y_S1Z_S1Z_S20_S1Z_S21_NST_IJLi0ELi1ELi2ELi3ELi4ELi5EEEELi5ELi4EEEfNS5_IJPKfEEEfS8_S8_S9_NSB_INS5_IJSE_SG_SI_SI_SG_SG_SK_SK_SG_SN_SN_SP_SP_SR_SG_SG_NSQ_INS5_IJiNS_17integral_constantIiLi128EEEEEELb0EEENSF_INS27_IiLi1EEEEEEEENS5_IJSU_SV_SW_SX_SY_SZ_S10_S11_S12_S13_S14_S15_S16_S17_S18_NST_IJLi19EEEES1G_NST_IJLi20EEEEEEENS5_IJS1A_SZ_S10_S11_S12_S1B_S1C_S1D_S1E_S15_S16_S18_S17_S1F_S1G_NST_IJLi22EEEENST_IJLi23ELi24EEEENST_IJLi25EEEEEEENST_IJLi22ELi23ELi24ELi25EEEElEENSB_INS5_IJSR_SP_SP_SR_SG_SG_S2A_S2C_EEENS5_IJSU_SV_SW_SY_SX_SZ_S11_S10_EEENS5_IJS1M_SX_SY_S1N_S11_S12_NST_IJLi9ELi10EEEENST_IJLi11EEEEEEENST_IJLi8ELi9ELi10ELi11EEEElEENS5_IJNSB_INS5_IJSK_SP_SP_NSQ_INS5_IJiNS27_IiLi2EEENS27_IiLi64EEEEEELb0EEES2X_EEENS5_IJSU_SV_SW_SX_SY_EEENS5_IJS1M_SX_SY_NST_IJLi5ELi6ELi7EEEENST_IJLi8ELi9ELi10EEEEEEENST_IJLi5ELi6ELi7ELi8ELi9ELi10EEEElEEEEES34_NS_31BlockToCTileMap_M00_N00_M01_N01ILi128ELi128ES1V_Lb0EEENS1_30ComputePtrOffsetOfStridedBatchILi1ELi1ELi1EvEELb1ELb1EEEvPKT0_S3C_T1_PT2_T3_T4_T5_iT6_T7_T8_T9_T10_T11_
		.amdhsa_group_segment_fixed_size 32768
		.amdhsa_private_segment_fixed_size 640
		.amdhsa_kernarg_size 968
		.amdhsa_user_sgpr_count 15
		.amdhsa_user_sgpr_dispatch_ptr 0
		.amdhsa_user_sgpr_queue_ptr 0
		.amdhsa_user_sgpr_kernarg_segment_ptr 1
		.amdhsa_user_sgpr_dispatch_id 0
		.amdhsa_user_sgpr_private_segment_size 0
		.amdhsa_wavefront_size32 1
		.amdhsa_uses_dynamic_stack 0
		.amdhsa_enable_private_segment 1
		.amdhsa_system_sgpr_workgroup_id_x 1
		.amdhsa_system_sgpr_workgroup_id_y 0
		.amdhsa_system_sgpr_workgroup_id_z 0
		.amdhsa_system_sgpr_workgroup_info 0
		.amdhsa_system_vgpr_workitem_id 0
		.amdhsa_next_free_vgpr 248
		.amdhsa_next_free_sgpr 84
		.amdhsa_reserve_vcc 1
		.amdhsa_float_round_mode_32 0
		.amdhsa_float_round_mode_16_64 0
		.amdhsa_float_denorm_mode_32 3
		.amdhsa_float_denorm_mode_16_64 3
		.amdhsa_dx10_clamp 1
		.amdhsa_ieee_mode 1
		.amdhsa_fp16_overflow 0
		.amdhsa_workgroup_processor_mode 1
		.amdhsa_memory_ordered 1
		.amdhsa_forward_progress 0
		.amdhsa_shared_vgpr_count 0
		.amdhsa_exception_fp_ieee_invalid_op 0
		.amdhsa_exception_fp_denorm_src 0
		.amdhsa_exception_fp_ieee_div_zero 0
		.amdhsa_exception_fp_ieee_overflow 0
		.amdhsa_exception_fp_ieee_underflow 0
		.amdhsa_exception_fp_ieee_inexact 0
		.amdhsa_exception_int_div_zero 0
	.end_amdhsa_kernel
	.section	.text._ZN2ck16tensor_operation6device12_GLOBAL__N_137kernel_grouped_conv_fwd_dl_multiple_dINS_32GridwiseGemmDlMultipleD_km_kn_mnILi256EffNS_5TupleIJfEEEfNS0_12element_wise11PassThroughES8_NS7_7AddReluELNS_25InMemoryDataOperationEnumE0ENS_16TensorDescriptorINS5_IJNS_5EmbedINS5_IJiiiiEEESD_Lb0EEENS_11PassThroughIiEENS_3PadIiiiLb0EEESI_SG_SG_NSC_INS5_IJiiEEESJ_Lb0EEESK_SG_NS_23Merge_v2_magic_divisionINS5_IJiiiEEEEESN_NS_8RightPadIiiLb0EEESP_NS_7UnMergeISJ_Lb0EEESG_EEENS5_IJNS_8SequenceIJLi0EEEENST_IJLi1EEEENST_IJLi2EEEENST_IJLi3EEEENST_IJLi4EEEENST_IJLi5EEEENST_IJLi6EEEENST_IJLi7EEEENST_IJLi8EEEENST_IJLi9ELi11ELi13EEEENST_IJLi10ELi12ELi14EEEENST_IJLi15EEEENST_IJLi16EEEENST_IJLi18EEEENST_IJLi17EEEEEEENS5_IJNST_IJLi1ELi2ELi3ELi4EEEESZ_S10_S11_S12_NST_IJLi9EEEENST_IJLi10ELi11EEEENST_IJLi12ELi13EEEENST_IJLi14EEEES15_S16_S18_S17_NST_IJLi19ELi20EEEENST_IJLi21EEEEEEENST_IJLi19ELi21ELi20EEEElEENSB_INS5_IJSR_SP_SP_SR_SG_EEENS5_IJSU_SV_SW_SY_SX_EEENS5_IJNST_IJLi1ELi2EEEESX_SY_NST_IJLi5ELi6EEEES11_EEENST_IJLi5ELi7ELi6EEEElEENSB_INS5_IJSK_SP_SP_EEENS5_IJSU_SV_SW_EEENS5_IJS1M_SX_SY_EEENST_IJLi3ELi4EEEElEELi128ELi128ELi16ELi1ELi4ELi4ELi1ENST_IJLi8ELi2EEEES1W_NST_IJLi8ELi1ELi1ELi1EEEENST_IJLi2ELi1ELi128ELi1EEEENST_IJLi1ELi2ELi0ELi3EEEES1Z_NST_IJLi4ELi1ELi1ELi1EEEES1Z_NST_IJLi1ELi1ELi1ELi1EEEES1X_S1Y_S1Z_S1Z_S20_S1Z_S21_NST_IJLi0ELi1ELi2ELi3ELi4ELi5EEEELi5ELi4EEEfNS5_IJPKfEEEfS8_S8_S9_NSB_INS5_IJSE_SG_SI_SI_SG_SG_SK_SK_SG_SN_SN_SP_SP_SR_SG_SG_NSQ_INS5_IJiNS_17integral_constantIiLi128EEEEEELb0EEENSF_INS27_IiLi1EEEEEEEENS5_IJSU_SV_SW_SX_SY_SZ_S10_S11_S12_S13_S14_S15_S16_S17_S18_NST_IJLi19EEEES1G_NST_IJLi20EEEEEEENS5_IJS1A_SZ_S10_S11_S12_S1B_S1C_S1D_S1E_S15_S16_S18_S17_S1F_S1G_NST_IJLi22EEEENST_IJLi23ELi24EEEENST_IJLi25EEEEEEENST_IJLi22ELi23ELi24ELi25EEEElEENSB_INS5_IJSR_SP_SP_SR_SG_SG_S2A_S2C_EEENS5_IJSU_SV_SW_SY_SX_SZ_S11_S10_EEENS5_IJS1M_SX_SY_S1N_S11_S12_NST_IJLi9ELi10EEEENST_IJLi11EEEEEEENST_IJLi8ELi9ELi10ELi11EEEElEENS5_IJNSB_INS5_IJSK_SP_SP_NSQ_INS5_IJiNS27_IiLi2EEENS27_IiLi64EEEEEELb0EEES2X_EEENS5_IJSU_SV_SW_SX_SY_EEENS5_IJS1M_SX_SY_NST_IJLi5ELi6ELi7EEEENST_IJLi8ELi9ELi10EEEEEEENST_IJLi5ELi6ELi7ELi8ELi9ELi10EEEElEEEEES34_NS_31BlockToCTileMap_M00_N00_M01_N01ILi128ELi128ES1V_Lb0EEENS1_30ComputePtrOffsetOfStridedBatchILi1ELi1ELi1EvEELb1ELb1EEEvPKT0_S3C_T1_PT2_T3_T4_T5_iT6_T7_T8_T9_T10_T11_,"axG",@progbits,_ZN2ck16tensor_operation6device12_GLOBAL__N_137kernel_grouped_conv_fwd_dl_multiple_dINS_32GridwiseGemmDlMultipleD_km_kn_mnILi256EffNS_5TupleIJfEEEfNS0_12element_wise11PassThroughES8_NS7_7AddReluELNS_25InMemoryDataOperationEnumE0ENS_16TensorDescriptorINS5_IJNS_5EmbedINS5_IJiiiiEEESD_Lb0EEENS_11PassThroughIiEENS_3PadIiiiLb0EEESI_SG_SG_NSC_INS5_IJiiEEESJ_Lb0EEESK_SG_NS_23Merge_v2_magic_divisionINS5_IJiiiEEEEESN_NS_8RightPadIiiLb0EEESP_NS_7UnMergeISJ_Lb0EEESG_EEENS5_IJNS_8SequenceIJLi0EEEENST_IJLi1EEEENST_IJLi2EEEENST_IJLi3EEEENST_IJLi4EEEENST_IJLi5EEEENST_IJLi6EEEENST_IJLi7EEEENST_IJLi8EEEENST_IJLi9ELi11ELi13EEEENST_IJLi10ELi12ELi14EEEENST_IJLi15EEEENST_IJLi16EEEENST_IJLi18EEEENST_IJLi17EEEEEEENS5_IJNST_IJLi1ELi2ELi3ELi4EEEESZ_S10_S11_S12_NST_IJLi9EEEENST_IJLi10ELi11EEEENST_IJLi12ELi13EEEENST_IJLi14EEEES15_S16_S18_S17_NST_IJLi19ELi20EEEENST_IJLi21EEEEEEENST_IJLi19ELi21ELi20EEEElEENSB_INS5_IJSR_SP_SP_SR_SG_EEENS5_IJSU_SV_SW_SY_SX_EEENS5_IJNST_IJLi1ELi2EEEESX_SY_NST_IJLi5ELi6EEEES11_EEENST_IJLi5ELi7ELi6EEEElEENSB_INS5_IJSK_SP_SP_EEENS5_IJSU_SV_SW_EEENS5_IJS1M_SX_SY_EEENST_IJLi3ELi4EEEElEELi128ELi128ELi16ELi1ELi4ELi4ELi1ENST_IJLi8ELi2EEEES1W_NST_IJLi8ELi1ELi1ELi1EEEENST_IJLi2ELi1ELi128ELi1EEEENST_IJLi1ELi2ELi0ELi3EEEES1Z_NST_IJLi4ELi1ELi1ELi1EEEES1Z_NST_IJLi1ELi1ELi1ELi1EEEES1X_S1Y_S1Z_S1Z_S20_S1Z_S21_NST_IJLi0ELi1ELi2ELi3ELi4ELi5EEEELi5ELi4EEEfNS5_IJPKfEEEfS8_S8_S9_NSB_INS5_IJSE_SG_SI_SI_SG_SG_SK_SK_SG_SN_SN_SP_SP_SR_SG_SG_NSQ_INS5_IJiNS_17integral_constantIiLi128EEEEEELb0EEENSF_INS27_IiLi1EEEEEEEENS5_IJSU_SV_SW_SX_SY_SZ_S10_S11_S12_S13_S14_S15_S16_S17_S18_NST_IJLi19EEEES1G_NST_IJLi20EEEEEEENS5_IJS1A_SZ_S10_S11_S12_S1B_S1C_S1D_S1E_S15_S16_S18_S17_S1F_S1G_NST_IJLi22EEEENST_IJLi23ELi24EEEENST_IJLi25EEEEEEENST_IJLi22ELi23ELi24ELi25EEEElEENSB_INS5_IJSR_SP_SP_SR_SG_SG_S2A_S2C_EEENS5_IJSU_SV_SW_SY_SX_SZ_S11_S10_EEENS5_IJS1M_SX_SY_S1N_S11_S12_NST_IJLi9ELi10EEEENST_IJLi11EEEEEEENST_IJLi8ELi9ELi10ELi11EEEElEENS5_IJNSB_INS5_IJSK_SP_SP_NSQ_INS5_IJiNS27_IiLi2EEENS27_IiLi64EEEEEELb0EEES2X_EEENS5_IJSU_SV_SW_SX_SY_EEENS5_IJS1M_SX_SY_NST_IJLi5ELi6ELi7EEEENST_IJLi8ELi9ELi10EEEEEEENST_IJLi5ELi6ELi7ELi8ELi9ELi10EEEElEEEEES34_NS_31BlockToCTileMap_M00_N00_M01_N01ILi128ELi128ES1V_Lb0EEENS1_30ComputePtrOffsetOfStridedBatchILi1ELi1ELi1EvEELb1ELb1EEEvPKT0_S3C_T1_PT2_T3_T4_T5_iT6_T7_T8_T9_T10_T11_,comdat
.Lfunc_end8:
	.size	_ZN2ck16tensor_operation6device12_GLOBAL__N_137kernel_grouped_conv_fwd_dl_multiple_dINS_32GridwiseGemmDlMultipleD_km_kn_mnILi256EffNS_5TupleIJfEEEfNS0_12element_wise11PassThroughES8_NS7_7AddReluELNS_25InMemoryDataOperationEnumE0ENS_16TensorDescriptorINS5_IJNS_5EmbedINS5_IJiiiiEEESD_Lb0EEENS_11PassThroughIiEENS_3PadIiiiLb0EEESI_SG_SG_NSC_INS5_IJiiEEESJ_Lb0EEESK_SG_NS_23Merge_v2_magic_divisionINS5_IJiiiEEEEESN_NS_8RightPadIiiLb0EEESP_NS_7UnMergeISJ_Lb0EEESG_EEENS5_IJNS_8SequenceIJLi0EEEENST_IJLi1EEEENST_IJLi2EEEENST_IJLi3EEEENST_IJLi4EEEENST_IJLi5EEEENST_IJLi6EEEENST_IJLi7EEEENST_IJLi8EEEENST_IJLi9ELi11ELi13EEEENST_IJLi10ELi12ELi14EEEENST_IJLi15EEEENST_IJLi16EEEENST_IJLi18EEEENST_IJLi17EEEEEEENS5_IJNST_IJLi1ELi2ELi3ELi4EEEESZ_S10_S11_S12_NST_IJLi9EEEENST_IJLi10ELi11EEEENST_IJLi12ELi13EEEENST_IJLi14EEEES15_S16_S18_S17_NST_IJLi19ELi20EEEENST_IJLi21EEEEEEENST_IJLi19ELi21ELi20EEEElEENSB_INS5_IJSR_SP_SP_SR_SG_EEENS5_IJSU_SV_SW_SY_SX_EEENS5_IJNST_IJLi1ELi2EEEESX_SY_NST_IJLi5ELi6EEEES11_EEENST_IJLi5ELi7ELi6EEEElEENSB_INS5_IJSK_SP_SP_EEENS5_IJSU_SV_SW_EEENS5_IJS1M_SX_SY_EEENST_IJLi3ELi4EEEElEELi128ELi128ELi16ELi1ELi4ELi4ELi1ENST_IJLi8ELi2EEEES1W_NST_IJLi8ELi1ELi1ELi1EEEENST_IJLi2ELi1ELi128ELi1EEEENST_IJLi1ELi2ELi0ELi3EEEES1Z_NST_IJLi4ELi1ELi1ELi1EEEES1Z_NST_IJLi1ELi1ELi1ELi1EEEES1X_S1Y_S1Z_S1Z_S20_S1Z_S21_NST_IJLi0ELi1ELi2ELi3ELi4ELi5EEEELi5ELi4EEEfNS5_IJPKfEEEfS8_S8_S9_NSB_INS5_IJSE_SG_SI_SI_SG_SG_SK_SK_SG_SN_SN_SP_SP_SR_SG_SG_NSQ_INS5_IJiNS_17integral_constantIiLi128EEEEEELb0EEENSF_INS27_IiLi1EEEEEEEENS5_IJSU_SV_SW_SX_SY_SZ_S10_S11_S12_S13_S14_S15_S16_S17_S18_NST_IJLi19EEEES1G_NST_IJLi20EEEEEEENS5_IJS1A_SZ_S10_S11_S12_S1B_S1C_S1D_S1E_S15_S16_S18_S17_S1F_S1G_NST_IJLi22EEEENST_IJLi23ELi24EEEENST_IJLi25EEEEEEENST_IJLi22ELi23ELi24ELi25EEEElEENSB_INS5_IJSR_SP_SP_SR_SG_SG_S2A_S2C_EEENS5_IJSU_SV_SW_SY_SX_SZ_S11_S10_EEENS5_IJS1M_SX_SY_S1N_S11_S12_NST_IJLi9ELi10EEEENST_IJLi11EEEEEEENST_IJLi8ELi9ELi10ELi11EEEElEENS5_IJNSB_INS5_IJSK_SP_SP_NSQ_INS5_IJiNS27_IiLi2EEENS27_IiLi64EEEEEELb0EEES2X_EEENS5_IJSU_SV_SW_SX_SY_EEENS5_IJS1M_SX_SY_NST_IJLi5ELi6ELi7EEEENST_IJLi8ELi9ELi10EEEEEEENST_IJLi5ELi6ELi7ELi8ELi9ELi10EEEElEEEEES34_NS_31BlockToCTileMap_M00_N00_M01_N01ILi128ELi128ES1V_Lb0EEENS1_30ComputePtrOffsetOfStridedBatchILi1ELi1ELi1EvEELb1ELb1EEEvPKT0_S3C_T1_PT2_T3_T4_T5_iT6_T7_T8_T9_T10_T11_, .Lfunc_end8-_ZN2ck16tensor_operation6device12_GLOBAL__N_137kernel_grouped_conv_fwd_dl_multiple_dINS_32GridwiseGemmDlMultipleD_km_kn_mnILi256EffNS_5TupleIJfEEEfNS0_12element_wise11PassThroughES8_NS7_7AddReluELNS_25InMemoryDataOperationEnumE0ENS_16TensorDescriptorINS5_IJNS_5EmbedINS5_IJiiiiEEESD_Lb0EEENS_11PassThroughIiEENS_3PadIiiiLb0EEESI_SG_SG_NSC_INS5_IJiiEEESJ_Lb0EEESK_SG_NS_23Merge_v2_magic_divisionINS5_IJiiiEEEEESN_NS_8RightPadIiiLb0EEESP_NS_7UnMergeISJ_Lb0EEESG_EEENS5_IJNS_8SequenceIJLi0EEEENST_IJLi1EEEENST_IJLi2EEEENST_IJLi3EEEENST_IJLi4EEEENST_IJLi5EEEENST_IJLi6EEEENST_IJLi7EEEENST_IJLi8EEEENST_IJLi9ELi11ELi13EEEENST_IJLi10ELi12ELi14EEEENST_IJLi15EEEENST_IJLi16EEEENST_IJLi18EEEENST_IJLi17EEEEEEENS5_IJNST_IJLi1ELi2ELi3ELi4EEEESZ_S10_S11_S12_NST_IJLi9EEEENST_IJLi10ELi11EEEENST_IJLi12ELi13EEEENST_IJLi14EEEES15_S16_S18_S17_NST_IJLi19ELi20EEEENST_IJLi21EEEEEEENST_IJLi19ELi21ELi20EEEElEENSB_INS5_IJSR_SP_SP_SR_SG_EEENS5_IJSU_SV_SW_SY_SX_EEENS5_IJNST_IJLi1ELi2EEEESX_SY_NST_IJLi5ELi6EEEES11_EEENST_IJLi5ELi7ELi6EEEElEENSB_INS5_IJSK_SP_SP_EEENS5_IJSU_SV_SW_EEENS5_IJS1M_SX_SY_EEENST_IJLi3ELi4EEEElEELi128ELi128ELi16ELi1ELi4ELi4ELi1ENST_IJLi8ELi2EEEES1W_NST_IJLi8ELi1ELi1ELi1EEEENST_IJLi2ELi1ELi128ELi1EEEENST_IJLi1ELi2ELi0ELi3EEEES1Z_NST_IJLi4ELi1ELi1ELi1EEEES1Z_NST_IJLi1ELi1ELi1ELi1EEEES1X_S1Y_S1Z_S1Z_S20_S1Z_S21_NST_IJLi0ELi1ELi2ELi3ELi4ELi5EEEELi5ELi4EEEfNS5_IJPKfEEEfS8_S8_S9_NSB_INS5_IJSE_SG_SI_SI_SG_SG_SK_SK_SG_SN_SN_SP_SP_SR_SG_SG_NSQ_INS5_IJiNS_17integral_constantIiLi128EEEEEELb0EEENSF_INS27_IiLi1EEEEEEEENS5_IJSU_SV_SW_SX_SY_SZ_S10_S11_S12_S13_S14_S15_S16_S17_S18_NST_IJLi19EEEES1G_NST_IJLi20EEEEEEENS5_IJS1A_SZ_S10_S11_S12_S1B_S1C_S1D_S1E_S15_S16_S18_S17_S1F_S1G_NST_IJLi22EEEENST_IJLi23ELi24EEEENST_IJLi25EEEEEEENST_IJLi22ELi23ELi24ELi25EEEElEENSB_INS5_IJSR_SP_SP_SR_SG_SG_S2A_S2C_EEENS5_IJSU_SV_SW_SY_SX_SZ_S11_S10_EEENS5_IJS1M_SX_SY_S1N_S11_S12_NST_IJLi9ELi10EEEENST_IJLi11EEEEEEENST_IJLi8ELi9ELi10ELi11EEEElEENS5_IJNSB_INS5_IJSK_SP_SP_NSQ_INS5_IJiNS27_IiLi2EEENS27_IiLi64EEEEEELb0EEES2X_EEENS5_IJSU_SV_SW_SX_SY_EEENS5_IJS1M_SX_SY_NST_IJLi5ELi6ELi7EEEENST_IJLi8ELi9ELi10EEEEEEENST_IJLi5ELi6ELi7ELi8ELi9ELi10EEEElEEEEES34_NS_31BlockToCTileMap_M00_N00_M01_N01ILi128ELi128ES1V_Lb0EEENS1_30ComputePtrOffsetOfStridedBatchILi1ELi1ELi1EvEELb1ELb1EEEvPKT0_S3C_T1_PT2_T3_T4_T5_iT6_T7_T8_T9_T10_T11_
                                        ; -- End function
	.section	.AMDGPU.csdata,"",@progbits
; Kernel info:
; codeLenInByte = 1816
; NumSgprs: 86
; NumVgprs: 248
; ScratchSize: 640
; MemoryBound: 0
; FloatMode: 240
; IeeeMode: 1
; LDSByteSize: 32768 bytes/workgroup (compile time only)
; SGPRBlocks: 10
; VGPRBlocks: 30
; NumSGPRsForWavesPerEU: 86
; NumVGPRsForWavesPerEU: 248
; Occupancy: 5
; WaveLimiterHint : 1
; COMPUTE_PGM_RSRC2:SCRATCH_EN: 1
; COMPUTE_PGM_RSRC2:USER_SGPR: 15
; COMPUTE_PGM_RSRC2:TRAP_HANDLER: 0
; COMPUTE_PGM_RSRC2:TGID_X_EN: 1
; COMPUTE_PGM_RSRC2:TGID_Y_EN: 0
; COMPUTE_PGM_RSRC2:TGID_Z_EN: 0
; COMPUTE_PGM_RSRC2:TIDIG_COMP_CNT: 0
	.text
	.p2align	2                               ; -- Begin function _ZN2ck32GridwiseGemmDlMultipleD_km_kn_mnILi256EffNS_5TupleIJfEEEfNS_16tensor_operation12element_wise11PassThroughES5_NS4_7AddReluELNS_25InMemoryDataOperationEnumE0ENS_16TensorDescriptorINS1_IJNS_5EmbedINS1_IJiiiiEEESA_Lb0EEENS_11PassThroughIiEENS_3PadIiiiLb0EEESF_SD_SD_NS9_INS1_IJiiEEESG_Lb0EEESH_SD_NS_23Merge_v2_magic_divisionINS1_IJiiiEEEEESK_NS_8RightPadIiiLb0EEESM_NS_7UnMergeISG_Lb0EEESD_EEENS1_IJNS_8SequenceIJLi0EEEENSQ_IJLi1EEEENSQ_IJLi2EEEENSQ_IJLi3EEEENSQ_IJLi4EEEENSQ_IJLi5EEEENSQ_IJLi6EEEENSQ_IJLi7EEEENSQ_IJLi8EEEENSQ_IJLi9ELi11ELi13EEEENSQ_IJLi10ELi12ELi14EEEENSQ_IJLi15EEEENSQ_IJLi16EEEENSQ_IJLi18EEEENSQ_IJLi17EEEEEEENS1_IJNSQ_IJLi1ELi2ELi3ELi4EEEESW_SX_SY_SZ_NSQ_IJLi9EEEENSQ_IJLi10ELi11EEEENSQ_IJLi12ELi13EEEENSQ_IJLi14EEEES12_S13_S15_S14_NSQ_IJLi19ELi20EEEENSQ_IJLi21EEEEEEENSQ_IJLi19ELi21ELi20EEEElEENS8_INS1_IJSO_SM_SM_SO_SD_EEENS1_IJSR_SS_ST_SV_SU_EEENS1_IJNSQ_IJLi1ELi2EEEESU_SV_NSQ_IJLi5ELi6EEEESY_EEENSQ_IJLi5ELi7ELi6EEEElEENS8_INS1_IJSH_SM_SM_EEENS1_IJSR_SS_ST_EEENS1_IJS1J_SU_SV_EEENSQ_IJLi3ELi4EEEElEELi128ELi128ELi16ELi1ELi4ELi4ELi1ENSQ_IJLi8ELi2EEEES1T_NSQ_IJLi8ELi1ELi1ELi1EEEENSQ_IJLi2ELi1ELi128ELi1EEEENSQ_IJLi1ELi2ELi0ELi3EEEES1W_NSQ_IJLi4ELi1ELi1ELi1EEEES1W_NSQ_IJLi1ELi1ELi1ELi1EEEES1U_S1V_S1W_S1W_S1X_S1W_S1Y_NSQ_IJLi0ELi1ELi2ELi3ELi4ELi5EEEELi5ELi4EE3RunINS1_IJNS8_INS1_IJSH_SM_SM_NSN_INS1_IJiNS_17integral_constantIiLi2EEENS22_IiLi64EEEEEELb0EEES26_EEENS1_IJSR_SS_ST_SU_SV_EEENS1_IJS1J_SU_SV_NSQ_IJLi5ELi6ELi7EEEENSQ_IJLi8ELi9ELi10EEEEEEENSQ_IJLi5ELi6ELi7ELi8ELi9ELi10EEEElEEEEELb1ELb0ENS_31BlockToCTileMap_M00_N00_M01_N01ILi128ELi128ES1S_Lb0EEEEEvPKfS2I_NS1_IJS2I_EEEPfPvRKS5_S2N_RKS6_RKNS8_INS1_IJSB_SD_SF_SF_SD_SD_SH_SH_SD_SK_SK_SM_SM_SO_SD_SD_NSN_INS1_IJiNS22_IiLi128EEEEEELb0EEENSC_INS22_IiLi1EEEEEEEENS1_IJSR_SS_ST_SU_SV_SW_SX_SY_SZ_S10_S11_S12_S13_S14_S15_NSQ_IJLi19EEEES1D_NSQ_IJLi20EEEEEEENS1_IJS17_SW_SX_SY_SZ_S18_S19_S1A_S1B_S12_S13_S15_S14_S1C_S1D_NSQ_IJLi22EEEENSQ_IJLi23ELi24EEEENSQ_IJLi25EEEEEEENSQ_IJLi22ELi23ELi24ELi25EEEElEERKNS8_INS1_IJSO_SM_SM_SO_SD_SD_S2S_S2U_EEENS1_IJSR_SS_ST_SV_SU_SW_SY_SX_EEENS1_IJS1J_SU_SV_S1K_SY_SZ_NSQ_IJLi9ELi10EEEENSQ_IJLi11EEEEEEENSQ_IJLi8ELi9ELi10ELi11EEEElEERKT_RKS2D_RKT2_NS22_IbXT0_EEENS22_IbXT1_EEE
	.type	_ZN2ck32GridwiseGemmDlMultipleD_km_kn_mnILi256EffNS_5TupleIJfEEEfNS_16tensor_operation12element_wise11PassThroughES5_NS4_7AddReluELNS_25InMemoryDataOperationEnumE0ENS_16TensorDescriptorINS1_IJNS_5EmbedINS1_IJiiiiEEESA_Lb0EEENS_11PassThroughIiEENS_3PadIiiiLb0EEESF_SD_SD_NS9_INS1_IJiiEEESG_Lb0EEESH_SD_NS_23Merge_v2_magic_divisionINS1_IJiiiEEEEESK_NS_8RightPadIiiLb0EEESM_NS_7UnMergeISG_Lb0EEESD_EEENS1_IJNS_8SequenceIJLi0EEEENSQ_IJLi1EEEENSQ_IJLi2EEEENSQ_IJLi3EEEENSQ_IJLi4EEEENSQ_IJLi5EEEENSQ_IJLi6EEEENSQ_IJLi7EEEENSQ_IJLi8EEEENSQ_IJLi9ELi11ELi13EEEENSQ_IJLi10ELi12ELi14EEEENSQ_IJLi15EEEENSQ_IJLi16EEEENSQ_IJLi18EEEENSQ_IJLi17EEEEEEENS1_IJNSQ_IJLi1ELi2ELi3ELi4EEEESW_SX_SY_SZ_NSQ_IJLi9EEEENSQ_IJLi10ELi11EEEENSQ_IJLi12ELi13EEEENSQ_IJLi14EEEES12_S13_S15_S14_NSQ_IJLi19ELi20EEEENSQ_IJLi21EEEEEEENSQ_IJLi19ELi21ELi20EEEElEENS8_INS1_IJSO_SM_SM_SO_SD_EEENS1_IJSR_SS_ST_SV_SU_EEENS1_IJNSQ_IJLi1ELi2EEEESU_SV_NSQ_IJLi5ELi6EEEESY_EEENSQ_IJLi5ELi7ELi6EEEElEENS8_INS1_IJSH_SM_SM_EEENS1_IJSR_SS_ST_EEENS1_IJS1J_SU_SV_EEENSQ_IJLi3ELi4EEEElEELi128ELi128ELi16ELi1ELi4ELi4ELi1ENSQ_IJLi8ELi2EEEES1T_NSQ_IJLi8ELi1ELi1ELi1EEEENSQ_IJLi2ELi1ELi128ELi1EEEENSQ_IJLi1ELi2ELi0ELi3EEEES1W_NSQ_IJLi4ELi1ELi1ELi1EEEES1W_NSQ_IJLi1ELi1ELi1ELi1EEEES1U_S1V_S1W_S1W_S1X_S1W_S1Y_NSQ_IJLi0ELi1ELi2ELi3ELi4ELi5EEEELi5ELi4EE3RunINS1_IJNS8_INS1_IJSH_SM_SM_NSN_INS1_IJiNS_17integral_constantIiLi2EEENS22_IiLi64EEEEEELb0EEES26_EEENS1_IJSR_SS_ST_SU_SV_EEENS1_IJS1J_SU_SV_NSQ_IJLi5ELi6ELi7EEEENSQ_IJLi8ELi9ELi10EEEEEEENSQ_IJLi5ELi6ELi7ELi8ELi9ELi10EEEElEEEEELb1ELb0ENS_31BlockToCTileMap_M00_N00_M01_N01ILi128ELi128ES1S_Lb0EEEEEvPKfS2I_NS1_IJS2I_EEEPfPvRKS5_S2N_RKS6_RKNS8_INS1_IJSB_SD_SF_SF_SD_SD_SH_SH_SD_SK_SK_SM_SM_SO_SD_SD_NSN_INS1_IJiNS22_IiLi128EEEEEELb0EEENSC_INS22_IiLi1EEEEEEEENS1_IJSR_SS_ST_SU_SV_SW_SX_SY_SZ_S10_S11_S12_S13_S14_S15_NSQ_IJLi19EEEES1D_NSQ_IJLi20EEEEEEENS1_IJS17_SW_SX_SY_SZ_S18_S19_S1A_S1B_S12_S13_S15_S14_S1C_S1D_NSQ_IJLi22EEEENSQ_IJLi23ELi24EEEENSQ_IJLi25EEEEEEENSQ_IJLi22ELi23ELi24ELi25EEEElEERKNS8_INS1_IJSO_SM_SM_SO_SD_SD_S2S_S2U_EEENS1_IJSR_SS_ST_SV_SU_SW_SY_SX_EEENS1_IJS1J_SU_SV_S1K_SY_SZ_NSQ_IJLi9ELi10EEEENSQ_IJLi11EEEEEEENSQ_IJLi8ELi9ELi10ELi11EEEElEERKT_RKS2D_RKT2_NS22_IbXT0_EEENS22_IbXT1_EEE,@function
_ZN2ck32GridwiseGemmDlMultipleD_km_kn_mnILi256EffNS_5TupleIJfEEEfNS_16tensor_operation12element_wise11PassThroughES5_NS4_7AddReluELNS_25InMemoryDataOperationEnumE0ENS_16TensorDescriptorINS1_IJNS_5EmbedINS1_IJiiiiEEESA_Lb0EEENS_11PassThroughIiEENS_3PadIiiiLb0EEESF_SD_SD_NS9_INS1_IJiiEEESG_Lb0EEESH_SD_NS_23Merge_v2_magic_divisionINS1_IJiiiEEEEESK_NS_8RightPadIiiLb0EEESM_NS_7UnMergeISG_Lb0EEESD_EEENS1_IJNS_8SequenceIJLi0EEEENSQ_IJLi1EEEENSQ_IJLi2EEEENSQ_IJLi3EEEENSQ_IJLi4EEEENSQ_IJLi5EEEENSQ_IJLi6EEEENSQ_IJLi7EEEENSQ_IJLi8EEEENSQ_IJLi9ELi11ELi13EEEENSQ_IJLi10ELi12ELi14EEEENSQ_IJLi15EEEENSQ_IJLi16EEEENSQ_IJLi18EEEENSQ_IJLi17EEEEEEENS1_IJNSQ_IJLi1ELi2ELi3ELi4EEEESW_SX_SY_SZ_NSQ_IJLi9EEEENSQ_IJLi10ELi11EEEENSQ_IJLi12ELi13EEEENSQ_IJLi14EEEES12_S13_S15_S14_NSQ_IJLi19ELi20EEEENSQ_IJLi21EEEEEEENSQ_IJLi19ELi21ELi20EEEElEENS8_INS1_IJSO_SM_SM_SO_SD_EEENS1_IJSR_SS_ST_SV_SU_EEENS1_IJNSQ_IJLi1ELi2EEEESU_SV_NSQ_IJLi5ELi6EEEESY_EEENSQ_IJLi5ELi7ELi6EEEElEENS8_INS1_IJSH_SM_SM_EEENS1_IJSR_SS_ST_EEENS1_IJS1J_SU_SV_EEENSQ_IJLi3ELi4EEEElEELi128ELi128ELi16ELi1ELi4ELi4ELi1ENSQ_IJLi8ELi2EEEES1T_NSQ_IJLi8ELi1ELi1ELi1EEEENSQ_IJLi2ELi1ELi128ELi1EEEENSQ_IJLi1ELi2ELi0ELi3EEEES1W_NSQ_IJLi4ELi1ELi1ELi1EEEES1W_NSQ_IJLi1ELi1ELi1ELi1EEEES1U_S1V_S1W_S1W_S1X_S1W_S1Y_NSQ_IJLi0ELi1ELi2ELi3ELi4ELi5EEEELi5ELi4EE3RunINS1_IJNS8_INS1_IJSH_SM_SM_NSN_INS1_IJiNS_17integral_constantIiLi2EEENS22_IiLi64EEEEEELb0EEES26_EEENS1_IJSR_SS_ST_SU_SV_EEENS1_IJS1J_SU_SV_NSQ_IJLi5ELi6ELi7EEEENSQ_IJLi8ELi9ELi10EEEEEEENSQ_IJLi5ELi6ELi7ELi8ELi9ELi10EEEElEEEEELb1ELb0ENS_31BlockToCTileMap_M00_N00_M01_N01ILi128ELi128ES1S_Lb0EEEEEvPKfS2I_NS1_IJS2I_EEEPfPvRKS5_S2N_RKS6_RKNS8_INS1_IJSB_SD_SF_SF_SD_SD_SH_SH_SD_SK_SK_SM_SM_SO_SD_SD_NSN_INS1_IJiNS22_IiLi128EEEEEELb0EEENSC_INS22_IiLi1EEEEEEEENS1_IJSR_SS_ST_SU_SV_SW_SX_SY_SZ_S10_S11_S12_S13_S14_S15_NSQ_IJLi19EEEES1D_NSQ_IJLi20EEEEEEENS1_IJS17_SW_SX_SY_SZ_S18_S19_S1A_S1B_S12_S13_S15_S14_S1C_S1D_NSQ_IJLi22EEEENSQ_IJLi23ELi24EEEENSQ_IJLi25EEEEEEENSQ_IJLi22ELi23ELi24ELi25EEEElEERKNS8_INS1_IJSO_SM_SM_SO_SD_SD_S2S_S2U_EEENS1_IJSR_SS_ST_SV_SU_SW_SY_SX_EEENS1_IJS1J_SU_SV_S1K_SY_SZ_NSQ_IJLi9ELi10EEEENSQ_IJLi11EEEEEEENSQ_IJLi8ELi9ELi10ELi11EEEElEERKT_RKS2D_RKT2_NS22_IbXT0_EEENS22_IbXT1_EEE: ; @_ZN2ck32GridwiseGemmDlMultipleD_km_kn_mnILi256EffNS_5TupleIJfEEEfNS_16tensor_operation12element_wise11PassThroughES5_NS4_7AddReluELNS_25InMemoryDataOperationEnumE0ENS_16TensorDescriptorINS1_IJNS_5EmbedINS1_IJiiiiEEESA_Lb0EEENS_11PassThroughIiEENS_3PadIiiiLb0EEESF_SD_SD_NS9_INS1_IJiiEEESG_Lb0EEESH_SD_NS_23Merge_v2_magic_divisionINS1_IJiiiEEEEESK_NS_8RightPadIiiLb0EEESM_NS_7UnMergeISG_Lb0EEESD_EEENS1_IJNS_8SequenceIJLi0EEEENSQ_IJLi1EEEENSQ_IJLi2EEEENSQ_IJLi3EEEENSQ_IJLi4EEEENSQ_IJLi5EEEENSQ_IJLi6EEEENSQ_IJLi7EEEENSQ_IJLi8EEEENSQ_IJLi9ELi11ELi13EEEENSQ_IJLi10ELi12ELi14EEEENSQ_IJLi15EEEENSQ_IJLi16EEEENSQ_IJLi18EEEENSQ_IJLi17EEEEEEENS1_IJNSQ_IJLi1ELi2ELi3ELi4EEEESW_SX_SY_SZ_NSQ_IJLi9EEEENSQ_IJLi10ELi11EEEENSQ_IJLi12ELi13EEEENSQ_IJLi14EEEES12_S13_S15_S14_NSQ_IJLi19ELi20EEEENSQ_IJLi21EEEEEEENSQ_IJLi19ELi21ELi20EEEElEENS8_INS1_IJSO_SM_SM_SO_SD_EEENS1_IJSR_SS_ST_SV_SU_EEENS1_IJNSQ_IJLi1ELi2EEEESU_SV_NSQ_IJLi5ELi6EEEESY_EEENSQ_IJLi5ELi7ELi6EEEElEENS8_INS1_IJSH_SM_SM_EEENS1_IJSR_SS_ST_EEENS1_IJS1J_SU_SV_EEENSQ_IJLi3ELi4EEEElEELi128ELi128ELi16ELi1ELi4ELi4ELi1ENSQ_IJLi8ELi2EEEES1T_NSQ_IJLi8ELi1ELi1ELi1EEEENSQ_IJLi2ELi1ELi128ELi1EEEENSQ_IJLi1ELi2ELi0ELi3EEEES1W_NSQ_IJLi4ELi1ELi1ELi1EEEES1W_NSQ_IJLi1ELi1ELi1ELi1EEEES1U_S1V_S1W_S1W_S1X_S1W_S1Y_NSQ_IJLi0ELi1ELi2ELi3ELi4ELi5EEEELi5ELi4EE3RunINS1_IJNS8_INS1_IJSH_SM_SM_NSN_INS1_IJiNS_17integral_constantIiLi2EEENS22_IiLi64EEEEEELb0EEES26_EEENS1_IJSR_SS_ST_SU_SV_EEENS1_IJS1J_SU_SV_NSQ_IJLi5ELi6ELi7EEEENSQ_IJLi8ELi9ELi10EEEEEEENSQ_IJLi5ELi6ELi7ELi8ELi9ELi10EEEElEEEEELb1ELb0ENS_31BlockToCTileMap_M00_N00_M01_N01ILi128ELi128ES1S_Lb0EEEEEvPKfS2I_NS1_IJS2I_EEEPfPvRKS5_S2N_RKS6_RKNS8_INS1_IJSB_SD_SF_SF_SD_SD_SH_SH_SD_SK_SK_SM_SM_SO_SD_SD_NSN_INS1_IJiNS22_IiLi128EEEEEELb0EEENSC_INS22_IiLi1EEEEEEEENS1_IJSR_SS_ST_SU_SV_SW_SX_SY_SZ_S10_S11_S12_S13_S14_S15_NSQ_IJLi19EEEES1D_NSQ_IJLi20EEEEEEENS1_IJS17_SW_SX_SY_SZ_S18_S19_S1A_S1B_S12_S13_S15_S14_S1C_S1D_NSQ_IJLi22EEEENSQ_IJLi23ELi24EEEENSQ_IJLi25EEEEEEENSQ_IJLi22ELi23ELi24ELi25EEEElEERKNS8_INS1_IJSO_SM_SM_SO_SD_SD_S2S_S2U_EEENS1_IJSR_SS_ST_SV_SU_SW_SY_SX_EEENS1_IJS1J_SU_SV_S1K_SY_SZ_NSQ_IJLi9ELi10EEEENSQ_IJLi11EEEEEEENSQ_IJLi8ELi9ELi10ELi11EEEElEERKT_RKS2D_RKT2_NS22_IbXT0_EEENS22_IbXT1_EEE
; %bb.0:
	s_waitcnt vmcnt(0) expcnt(0) lgkmcnt(0)
	v_dual_mov_b32 v19, v5 :: v_dual_mov_b32 v18, v4
	s_clause 0x2
	flat_load_b128 v[80:83], v[16:17] offset:68
	flat_load_b128 v[84:87], v[16:17] offset:88
	;; [unrolled: 1-line block ×3, first 2 shown]
	flat_load_b32 v69, v[8:9] offset:216
	flat_load_b32 v30, v[16:17] offset:20
	s_clause 0x7
	flat_load_b64 v[32:33], v[8:9] offset:160
	flat_load_b64 v[28:29], v[8:9] offset:120
	;; [unrolled: 1-line block ×8, first 2 shown]
	flat_load_b32 v67, v[10:11] offset:48
	flat_load_b32 v39, v[16:17] offset:36
	s_clause 0x3
	flat_load_b64 v[37:38], v[8:9] offset:52
	flat_load_b128 v[20:23], v[8:9] offset:36
	flat_load_b32 v70, v[8:9] offset:200
	flat_load_b128 v[24:27], v[8:9] offset:16
	flat_load_b32 v71, v[10:11] offset:8
	s_clause 0x1
	flat_load_b32 v100, v[8:9] offset:188
	flat_load_b32 v101, v[8:9] offset:256
	;; [unrolled: 1-line block ×3, first 2 shown]
	flat_load_b64 v[4:5], v[14:15] offset:72
	v_and_b32_e32 v31, 0x3ff, v31
	s_mov_b32 s10, 0
	s_mov_b32 s3, exec_lo
	s_waitcnt vmcnt(0) lgkmcnt(0)
	v_mul_hi_u32 v5, v83, s12
	s_delay_alu instid0(VALU_DEP_1) | instskip(NEXT) | instid1(VALU_DEP_1)
	v_add_nc_u32_e32 v5, s12, v5
	v_lshrrev_b32_e32 v34, v87, v5
	v_sub_nc_u32_e32 v20, v20, v22
	v_sub_nc_u32_e32 v23, v23, v38
	s_delay_alu instid0(VALU_DEP_3) | instskip(NEXT) | instid1(VALU_DEP_1)
	v_mul_hi_u32 v5, v34, v82
	v_add_nc_u32_e32 v5, v34, v5
	s_delay_alu instid0(VALU_DEP_1) | instskip(NEXT) | instid1(VALU_DEP_1)
	v_lshrrev_b32_e32 v82, v86, v5
	v_mul_hi_u32 v5, v82, v81
	v_mul_lo_u32 v16, v82, v98
	s_delay_alu instid0(VALU_DEP_2) | instskip(NEXT) | instid1(VALU_DEP_1)
	v_add_nc_u32_e32 v5, v82, v5
	v_lshrrev_b32_e32 v81, v85, v5
	s_delay_alu instid0(VALU_DEP_1) | instskip(NEXT) | instid1(VALU_DEP_1)
	v_mul_hi_u32 v5, v81, v80
	v_add_nc_u32_e32 v5, v81, v5
	s_delay_alu instid0(VALU_DEP_1) | instskip(NEXT) | instid1(VALU_DEP_1)
	v_lshrrev_b32_e32 v5, v84, v5
	v_mul_lo_u32 v17, v5, v96
	v_lshlrev_b32_e32 v5, 3, v31
	s_delay_alu instid0(VALU_DEP_1) | instskip(SKIP_1) | instid1(VALU_DEP_4)
	v_and_b32_e32 v117, 8, v5
	v_sub_nc_u32_e32 v5, v34, v16
	v_sub_nc_u32_e32 v66, v81, v17
	v_mul_lo_u32 v34, v34, v99
	s_delay_alu instid0(VALU_DEP_4) | instskip(NEXT) | instid1(VALU_DEP_3)
	v_mul_lo_u32 v83, v69, v117
	v_mad_u64_u32 v[16:17], null, v66, v30, v[5:6]
	v_lshrrev_b32_e32 v66, 1, v31
	v_lshrrev_b32_e32 v17, 5, v31
	s_delay_alu instid0(VALU_DEP_4) | instskip(SKIP_2) | instid1(VALU_DEP_1)
	v_mul_hi_u32 v5, v83, v33
	v_cmp_lt_i32_e32 vcc_lo, v83, v70
	v_readfirstlane_b32 s8, v16
	v_lshl_or_b32 v179, s8, 7, v66
	s_delay_alu instid0(VALU_DEP_4) | instskip(NEXT) | instid1(VALU_DEP_2)
	v_add_nc_u32_e32 v5, v83, v5
	v_mul_hi_u32 v16, v29, v179
	s_delay_alu instid0(VALU_DEP_2) | instskip(NEXT) | instid1(VALU_DEP_1)
	v_lshrrev_b32_e32 v29, v36, v5
	v_mul_hi_u32 v5, v29, v32
	s_delay_alu instid0(VALU_DEP_3) | instskip(NEXT) | instid1(VALU_DEP_1)
	v_add_nc_u32_e32 v16, v179, v16
	v_lshrrev_b32_e32 v30, v55, v16
	s_delay_alu instid0(VALU_DEP_3) | instskip(SKIP_2) | instid1(VALU_DEP_4)
	v_add_nc_u32_e32 v5, v29, v5
	v_lshlrev_b32_e32 v16, 1, v31
	v_lshlrev_b32_e32 v31, 2, v31
	v_mul_lo_u32 v55, v30, v65
	v_mul_hi_u32 v28, v30, v28
	v_lshrrev_b32_e32 v5, v35, v5
	v_and_b32_e32 v80, 0x1f8, v16
	v_and_b32_e32 v16, 0x1fc, v16
	v_lshlrev_b32_e32 v65, 6, v17
	s_delay_alu instid0(VALU_DEP_4) | instskip(SKIP_4) | instid1(VALU_DEP_4)
	v_mul_lo_u32 v84, v5, v50
	v_sub_nc_u32_e32 v55, v179, v55
	v_add_nc_u32_e32 v28, v30, v28
	v_sub_nc_u32_e32 v85, v16, v80
	v_sub_nc_u32_e32 v65, v80, v65
	v_mul_lo_u32 v16, v55, v49
	s_delay_alu instid0(VALU_DEP_4)
	v_lshrrev_b32_e32 v86, v54, v28
	v_mul_lo_u32 v28, v81, v97
	v_sub_nc_u32_e32 v49, v29, v84
	v_lshl_add_u32 v81, v17, 3, v85
	v_sub_nc_u32_e32 v17, s12, v34
	v_and_or_b32 v80, v31, 4, v65
	v_mul_lo_u32 v31, v86, v64
	v_mul_lo_u32 v34, v67, v117
	s_delay_alu instid0(VALU_DEP_4) | instskip(SKIP_4) | instid1(VALU_DEP_4)
	v_mad_u64_u32 v[54:55], null, v49, v48, v[16:17]
	v_sub_nc_u32_e32 v55, v82, v28
	v_mul_lo_u32 v16, v52, v5
	v_mul_lo_u32 v82, v29, v51
	v_sub_nc_u32_e32 v30, v30, v31
	v_mad_u64_u32 v[28:29], null, v55, v39, v[17:18]
	v_sub_nc_u32_e32 v17, v54, v37
	v_cmp_ge_i32_e64 s0, v54, v37
	v_cmp_gt_i32_e64 s1, v23, v54
	s_delay_alu instid0(VALU_DEP_3)
	v_mad_u64_u32 v[64:65], null, v30, v53, v[16:17]
	v_mul_lo_u32 v16, v17, v26
	v_mul_lo_u32 v17, v86, v24
	v_sub_nc_u32_e32 v53, v83, v82
	v_readfirstlane_b32 s9, v28
	s_and_b32 s2, s0, s1
	v_sub_nc_u32_e32 v22, v64, v21
	v_cmp_ge_i32_e64 s0, v64, v21
	s_delay_alu instid0(VALU_DEP_3) | instskip(SKIP_1) | instid1(VALU_DEP_4)
	v_lshl_or_b32 v180, s9, 7, v66
	v_mad_u64_u32 v[28:29], null, v27, v53, v[16:17]
	v_mul_lo_u32 v16, v22, v25
	v_cmp_gt_i32_e64 s1, v20, v64
	s_delay_alu instid0(VALU_DEP_4) | instskip(SKIP_2) | instid1(VALU_DEP_3)
	v_mad_u64_u32 v[38:39], null, v71, v180, v[34:35]
	s_and_b32 s2, vcc_lo, s2
	v_cmp_lt_i32_e32 vcc_lo, v179, v100
	s_and_b32 s0, s0, s1
	s_delay_alu instid0(VALU_DEP_4) | instskip(SKIP_2) | instid1(VALU_DEP_2)
	v_add3_u32 v22, v28, v17, v16
	v_dual_mov_b32 v17, 0x31004000 :: v_dual_lshlrev_b32 v16, 2, v101
	s_and_b32 s0, s2, s0
	v_lshlrev_b32_e32 v24, 2, v22
	s_and_b32 s0, vcc_lo, s0
.LBB9_1:                                ; =>This Inner Loop Header: Depth=1
	v_readfirstlane_b32 s4, v0
	v_readfirstlane_b32 s5, v1
	;; [unrolled: 1-line block ×4, first 2 shown]
	s_delay_alu instid0(VALU_DEP_3) | instskip(NEXT) | instid1(VALU_DEP_2)
	v_cmp_eq_u64_e64 s1, s[4:5], v[0:1]
	v_cmp_eq_u64_e64 s2, s[6:7], v[16:17]
	s_delay_alu instid0(VALU_DEP_1) | instskip(NEXT) | instid1(SALU_CYCLE_1)
	s_and_b32 s1, s1, s2
	s_and_saveexec_b32 s1, s1
	buffer_load_b128 v[28:31], v24, s[4:7], 0 offen
                                        ; implicit-def: $vgpr24
	s_xor_b32 exec_lo, exec_lo, s1
	s_cbranch_execnz .LBB9_1
; %bb.2:
	s_mov_b32 exec_lo, s3
	v_or_b32_e32 v24, 4, v117
	s_waitcnt vmcnt(0)
	v_cndmask_b32_e64 v31, 0, v31, s0
	v_cndmask_b32_e64 v28, 0, v28, s0
	s_delay_alu instid0(VALU_DEP_3) | instskip(NEXT) | instid1(VALU_DEP_1)
	v_mul_lo_u32 v194, v69, v24
	v_mul_hi_u32 v24, v33, v194
	v_cmp_lt_i32_e64 s5, v194, v70
	s_delay_alu instid0(VALU_DEP_2) | instskip(NEXT) | instid1(VALU_DEP_1)
	v_add_nc_u32_e32 v24, v194, v24
	v_lshrrev_b32_e32 v24, v36, v24
	s_delay_alu instid0(VALU_DEP_1) | instskip(SKIP_1) | instid1(VALU_DEP_2)
	v_mul_hi_u32 v32, v24, v32
	v_mul_lo_u32 v33, v24, v51
	v_add_nc_u32_e32 v32, v24, v32
	s_delay_alu instid0(VALU_DEP_2) | instskip(NEXT) | instid1(VALU_DEP_2)
	v_sub_nc_u32_e32 v197, v194, v33
	v_lshrrev_b32_e32 v195, v35, v32
	s_delay_alu instid0(VALU_DEP_1) | instskip(SKIP_1) | instid1(VALU_DEP_2)
	v_mul_lo_u32 v32, v195, v50
	v_sub_nc_u32_e32 v5, v195, v5
	v_sub_nc_u32_e32 v196, v24, v32
	s_delay_alu instid0(VALU_DEP_2) | instskip(SKIP_1) | instid1(VALU_DEP_3)
	v_mul_lo_u32 v24, v52, v5
	v_sub_nc_u32_e32 v32, v197, v53
	v_sub_nc_u32_e32 v5, v196, v49
	s_delay_alu instid0(VALU_DEP_2) | instskip(SKIP_1) | instid1(VALU_DEP_3)
	v_mul_lo_u32 v36, v27, v32
	v_cndmask_b32_e64 v27, 0, v29, s0
	v_mul_lo_u32 v35, v5, v48
	v_mul_lo_u32 v5, v24, v25
	v_add_nc_u32_e32 v24, v64, v24
	s_delay_alu instid0(VALU_DEP_1) | instskip(NEXT) | instid1(VALU_DEP_4)
	v_cmp_le_i32_e64 s1, v21, v24
	v_add_nc_u32_e32 v25, v35, v54
	s_delay_alu instid0(VALU_DEP_4) | instskip(SKIP_2) | instid1(VALU_DEP_4)
	v_mad_u64_u32 v[32:33], null, v35, v26, v[5:6]
	v_cmp_gt_i32_e64 s4, v20, v24
	v_cndmask_b32_e64 v26, 0, v30, s0
	v_cmp_le_i32_e64 s2, v37, v25
	v_cmp_gt_i32_e64 s3, v23, v25
	s_delay_alu instid0(VALU_DEP_4) | instskip(SKIP_1) | instid1(VALU_DEP_2)
	s_and_b32 s1, s1, s4
	v_add3_u32 v5, v32, v36, v22
	s_and_b32 s0, s2, s3
	s_mov_b32 s2, exec_lo
	s_and_b32 s0, s5, s0
	s_delay_alu instid0(VALU_DEP_1) | instskip(SKIP_1) | instid1(SALU_CYCLE_1)
	v_lshlrev_b32_e32 v29, 2, v5
	s_and_b32 s0, s0, s1
	s_and_b32 vcc_lo, vcc_lo, s0
.LBB9_3:                                ; =>This Inner Loop Header: Depth=1
	v_readfirstlane_b32 s4, v0
	v_readfirstlane_b32 s5, v1
	;; [unrolled: 1-line block ×4, first 2 shown]
	s_delay_alu instid0(VALU_DEP_3) | instskip(NEXT) | instid1(VALU_DEP_2)
	v_cmp_eq_u64_e64 s0, s[4:5], v[0:1]
	v_cmp_eq_u64_e64 s1, s[6:7], v[16:17]
	s_delay_alu instid0(VALU_DEP_1) | instskip(NEXT) | instid1(SALU_CYCLE_1)
	s_and_b32 s0, s0, s1
	s_and_saveexec_b32 s0, s0
	buffer_load_b128 v[20:23], v29, s[4:7], 0 offen
                                        ; implicit-def: $vgpr29
	s_xor_b32 exec_lo, exec_lo, s0
	s_cbranch_execnz .LBB9_3
; %bb.4:
	s_mov_b32 exec_lo, s2
	s_clause 0x1
	flat_load_b32 v39, v[10:11] offset:32
	flat_load_b32 v29, v[10:11] offset:20
	s_waitcnt vmcnt(2)
	v_dual_cndmask_b32 v32, 0, v23 :: v_dual_cndmask_b32 v33, 0, v22
	v_dual_cndmask_b32 v35, 0, v21 :: v_dual_cndmask_b32 v36, 0, v20
	v_lshlrev_b32_e32 v37, 2, v38
	s_mov_b32 s3, exec_lo
	v_mov_b32_e32 v30, 0x31004000
	s_waitcnt vmcnt(1) lgkmcnt(1)
	v_cmp_gt_i32_e64 s0, v39, v34
	s_waitcnt vmcnt(0) lgkmcnt(0)
	v_cmp_gt_i32_e32 vcc_lo, v29, v180
	v_lshlrev_b32_e32 v29, 2, v68
	s_delay_alu instid0(VALU_DEP_3)
	s_and_b32 s0, vcc_lo, s0
.LBB9_5:                                ; =>This Inner Loop Header: Depth=1
	v_readfirstlane_b32 s4, v2
	v_readfirstlane_b32 s5, v3
	s_delay_alu instid0(VALU_DEP_3) | instskip(SKIP_1) | instid1(VALU_DEP_3)
	v_readfirstlane_b32 s6, v29
	v_readfirstlane_b32 s7, v30
	v_cmp_eq_u64_e64 s1, s[4:5], v[2:3]
	s_delay_alu instid0(VALU_DEP_2) | instskip(NEXT) | instid1(VALU_DEP_1)
	v_cmp_eq_u64_e64 s2, s[6:7], v[29:30]
	s_and_b32 s1, s1, s2
	s_delay_alu instid0(SALU_CYCLE_1)
	s_and_saveexec_b32 s1, s1
	buffer_load_b128 v[20:23], v37, s[4:7], 0 offen
                                        ; implicit-def: $vgpr37
	s_xor_b32 exec_lo, exec_lo, s1
	s_cbranch_execnz .LBB9_5
; %bb.6:
	s_mov_b32 exec_lo, s3
	v_lshlrev_b32_e32 v37, 2, v67
	s_waitcnt vmcnt(0)
	v_cndmask_b32_e64 v130, 0, v20, s0
	s_mov_b32 s2, exec_lo
	s_delay_alu instid0(VALU_DEP_2)
	v_add_nc_u32_e32 v208, v37, v34
	v_add_nc_u32_e32 v199, v38, v37
	v_cndmask_b32_e64 v34, 0, v23, s0
	v_cndmask_b32_e64 v37, 0, v22, s0
	;; [unrolled: 1-line block ×3, first 2 shown]
	v_cmp_gt_i32_e64 s1, v39, v208
	v_lshlrev_b32_e32 v39, 2, v199
	s_delay_alu instid0(VALU_DEP_2)
	s_and_b32 vcc_lo, vcc_lo, s1
.LBB9_7:                                ; =>This Inner Loop Header: Depth=1
	v_readfirstlane_b32 s4, v2
	v_readfirstlane_b32 s5, v3
	;; [unrolled: 1-line block ×4, first 2 shown]
	s_delay_alu instid0(VALU_DEP_3) | instskip(NEXT) | instid1(VALU_DEP_2)
	v_cmp_eq_u64_e64 s0, s[4:5], v[2:3]
	v_cmp_eq_u64_e64 s1, s[6:7], v[29:30]
	s_delay_alu instid0(VALU_DEP_1) | instskip(NEXT) | instid1(SALU_CYCLE_1)
	s_and_b32 s0, s0, s1
	s_and_saveexec_b32 s0, s0
	buffer_load_b128 v[20:23], v39, s[4:7], 0 offen
                                        ; implicit-def: $vgpr39
	s_xor_b32 exec_lo, exec_lo, s0
	s_cbranch_execnz .LBB9_7
; %bb.8:
	s_mov_b32 exec_lo, s2
	flat_load_b32 v193, v[8:9] offset:228
	v_dual_mov_b32 v198, v194 :: v_dual_lshlrev_b32 v39, 2, v66
	s_waitcnt vmcnt(1)
	v_dual_cndmask_b32 v23, 0, v23 :: v_dual_cndmask_b32 v22, 0, v22
	v_dual_mov_b32 v134, 0 :: v_dual_lshlrev_b32 v177, 2, v81
	s_delay_alu instid0(VALU_DEP_3)
	v_lshl_or_b32 v181, v117, 9, v39
	v_dual_mov_b32 v131, 0 :: v_dual_lshlrev_b32 v178, 2, v80
	v_dual_mov_b32 v133, 0 :: v_dual_mov_b32 v132, 0
	v_dual_mov_b32 v87, 0 :: v_dual_mov_b32 v86, 0
	;; [unrolled: 1-line block ×30, first 2 shown]
	v_mov_b32_e32 v39, 0
	ds_store_2addr_stride64_b32 v181, v28, v27 offset1:2
	ds_store_2addr_stride64_b32 v181, v26, v31 offset0:4 offset1:6
	ds_store_2addr_stride64_b32 v181, v36, v35 offset0:8 offset1:10
	;; [unrolled: 1-line block ×3, first 2 shown]
	v_or_b32_e32 v182, 0x4000, v181
	ds_store_2addr_stride64_b32 v181, v130, v38 offset0:64 offset1:66
	v_mov_b32_e32 v130, 0
	v_or_b32_e32 v183, 0x2000, v181
	v_or_b32_e32 v192, 0x6000, v181
	v_dual_cndmask_b32 v21, 0, v21 :: v_dual_cndmask_b32 v20, 0, v20
	s_mov_b32 s11, 0
	ds_store_2addr_stride64_b32 v181, v37, v34 offset0:68 offset1:70
	ds_store_2addr_stride64_b32 v181, v20, v21 offset0:72 offset1:74
	;; [unrolled: 1-line block ×3, first 2 shown]
	s_waitcnt vmcnt(0) lgkmcnt(8)
	v_subrev_nc_u32_e32 v193, 32, v193
.LBB9_9:                                ; =>This Loop Header: Depth=1
                                        ;     Child Loop BB9_10 Depth 2
                                        ;     Child Loop BB9_12 Depth 2
	;; [unrolled: 1-line block ×8, first 2 shown]
	s_clause 0x3
	flat_load_b32 v211, v[8:9] offset:216
	flat_load_b64 v[33:34], v[8:9] offset:160
	flat_load_b64 v[31:32], v[8:9] offset:172
	;; [unrolled: 1-line block ×3, first 2 shown]
	flat_load_b32 v209, v[10:11] offset:48
	s_clause 0x6
	flat_load_b32 v213, v[8:9] offset:76
	flat_load_b32 v212, v[8:9] offset:92
	;; [unrolled: 1-line block ×3, first 2 shown]
	flat_load_b128 v[20:23], v[8:9] offset:36
	flat_load_b64 v[37:38], v[8:9] offset:52
	flat_load_b96 v[26:28], v[8:9] offset:20
	flat_load_b32 v210, v[8:9] offset:200
	s_waitcnt vmcnt(11) lgkmcnt(11)
	v_mul_lo_u32 v229, v211, 12
	s_waitcnt vmcnt(7) lgkmcnt(7)
	v_mul_lo_u32 v230, v209, 12
	s_waitcnt vmcnt(4) lgkmcnt(4)
	v_cmp_lt_i32_e32 vcc_lo, v179, v214
	s_delay_alu instid0(VALU_DEP_3)
	v_add_nc_u32_e32 v194, v229, v194
	s_waitcnt vmcnt(3) lgkmcnt(3)
	v_sub_nc_u32_e32 v20, v20, v22
	v_add_nc_u32_e32 v198, v229, v198
	v_add_nc_u32_e32 v208, v230, v208
	v_mul_hi_u32 v215, v194, v34
	v_add_nc_u32_e32 v214, v230, v199
	s_waitcnt vmcnt(0) lgkmcnt(0)
	v_cmp_lt_i32_e64 s4, v198, v210
	s_delay_alu instid0(VALU_DEP_3) | instskip(NEXT) | instid1(VALU_DEP_1)
	v_add_nc_u32_e32 v215, v194, v215
	v_lshrrev_b32_e32 v215, v32, v215
	s_delay_alu instid0(VALU_DEP_1) | instskip(SKIP_1) | instid1(VALU_DEP_2)
	v_mul_hi_u32 v224, v215, v33
	v_mul_lo_u32 v227, v215, v36
	v_add_nc_u32_e32 v224, v215, v224
	s_delay_alu instid0(VALU_DEP_1) | instskip(NEXT) | instid1(VALU_DEP_1)
	v_lshrrev_b32_e32 v225, v31, v224
	v_mul_lo_u32 v224, v225, v35
	v_sub_nc_u32_e32 v195, v225, v195
	s_delay_alu instid0(VALU_DEP_1) | instskip(NEXT) | instid1(VALU_DEP_3)
	v_mul_lo_u32 v195, v195, v213
	v_sub_nc_u32_e32 v226, v215, v224
	v_sub_nc_u32_e32 v224, v194, v227
	;; [unrolled: 1-line block ×3, first 2 shown]
	s_delay_alu instid0(VALU_DEP_3) | instskip(NEXT) | instid1(VALU_DEP_3)
	v_sub_nc_u32_e32 v196, v226, v196
	v_sub_nc_u32_e32 v197, v224, v197
	v_add_nc_u32_e32 v228, v195, v24
	s_delay_alu instid0(VALU_DEP_3) | instskip(NEXT) | instid1(VALU_DEP_3)
	v_mul_lo_u32 v196, v196, v212
	v_mad_u64_u32 v[22:23], null, v28, v197, v[5:6]
	v_mul_lo_u32 v5, v195, v26
	s_delay_alu instid0(VALU_DEP_4) | instskip(SKIP_3) | instid1(VALU_DEP_3)
	v_cmp_le_i32_e64 s0, v21, v228
	v_cmp_gt_i32_e64 s3, v20, v228
	v_add_nc_u32_e32 v227, v196, v25
	v_mul_lo_u32 v23, v196, v27
	s_and_b32 s0, s0, s3
	s_mov_b32 s3, exec_lo
	s_delay_alu instid0(VALU_DEP_2) | instskip(SKIP_1) | instid1(VALU_DEP_3)
	v_cmp_le_i32_e64 s1, v37, v227
	v_cmp_gt_i32_e64 s2, v215, v227
	v_add3_u32 v5, v22, v5, v23
	s_delay_alu instid0(VALU_DEP_2) | instskip(NEXT) | instid1(SALU_CYCLE_1)
	s_and_b32 s1, s1, s2
	s_and_b32 s1, s4, s1
	s_delay_alu instid0(VALU_DEP_1) | instskip(SKIP_1) | instid1(SALU_CYCLE_1)
	v_lshlrev_b32_e32 v38, 2, v5
	s_and_b32 s0, s1, s0
	s_and_b32 s0, vcc_lo, s0
.LBB9_10:                               ;   Parent Loop BB9_9 Depth=1
                                        ; =>  This Inner Loop Header: Depth=2
	v_readfirstlane_b32 s4, v0
	v_readfirstlane_b32 s5, v1
	;; [unrolled: 1-line block ×4, first 2 shown]
	s_delay_alu instid0(VALU_DEP_3) | instskip(NEXT) | instid1(VALU_DEP_2)
	v_cmp_eq_u64_e64 s1, s[4:5], v[0:1]
	v_cmp_eq_u64_e64 s2, s[6:7], v[16:17]
	s_delay_alu instid0(VALU_DEP_1) | instskip(NEXT) | instid1(SALU_CYCLE_1)
	s_and_b32 s1, s1, s2
	s_and_saveexec_b32 s1, s1
	buffer_load_b128 v[22:25], v38, s[4:7], 0 offen
                                        ; implicit-def: $vgpr38
	s_xor_b32 exec_lo, exec_lo, s1
	s_cbranch_execnz .LBB9_10
; %bb.11:                               ;   in Loop: Header=BB9_9 Depth=1
	s_mov_b32 exec_lo, s3
	v_lshlrev_b32_e32 v211, 2, v211
	s_waitcnt vmcnt(0)
	v_cndmask_b32_e64 v38, 0, v25, s0
	v_cndmask_b32_e64 v199, 0, v24, s0
	s_delay_alu instid0(VALU_DEP_3) | instskip(SKIP_1) | instid1(VALU_DEP_2)
	v_add_nc_u32_e32 v195, v211, v194
	v_add_nc_u32_e32 v198, v211, v198
	v_mul_hi_u32 v34, v195, v34
	s_delay_alu instid0(VALU_DEP_2) | instskip(NEXT) | instid1(VALU_DEP_2)
	v_cmp_lt_i32_e64 s5, v198, v210
	v_add_nc_u32_e32 v34, v195, v34
	s_delay_alu instid0(VALU_DEP_1) | instskip(NEXT) | instid1(VALU_DEP_1)
	v_lshrrev_b32_e32 v32, v32, v34
	v_mul_hi_u32 v33, v32, v33
	s_delay_alu instid0(VALU_DEP_1) | instskip(NEXT) | instid1(VALU_DEP_1)
	v_add_nc_u32_e32 v33, v32, v33
	v_lshrrev_b32_e32 v194, v31, v33
	v_mul_lo_u32 v33, v32, v36
	s_delay_alu instid0(VALU_DEP_2) | instskip(NEXT) | instid1(VALU_DEP_2)
	v_mul_lo_u32 v31, v194, v35
	v_sub_nc_u32_e32 v196, v195, v33
	s_delay_alu instid0(VALU_DEP_2) | instskip(SKIP_1) | instid1(VALU_DEP_3)
	v_sub_nc_u32_e32 v197, v32, v31
	v_sub_nc_u32_e32 v31, v194, v225
	;; [unrolled: 1-line block ×3, first 2 shown]
	s_delay_alu instid0(VALU_DEP_3) | instskip(NEXT) | instid1(VALU_DEP_3)
	v_sub_nc_u32_e32 v32, v197, v226
	v_mul_lo_u32 v33, v31, v213
	s_delay_alu instid0(VALU_DEP_2) | instskip(NEXT) | instid1(VALU_DEP_4)
	v_mul_lo_u32 v35, v32, v212
	v_mad_u64_u32 v[31:32], null, v28, v34, v[5:6]
	s_delay_alu instid0(VALU_DEP_3) | instskip(SKIP_4) | instid1(VALU_DEP_4)
	v_mul_lo_u32 v5, v33, v26
	v_add_nc_u32_e32 v24, v33, v228
	v_cndmask_b32_e64 v26, 0, v23, s0
	v_add_nc_u32_e32 v25, v35, v227
	v_mul_lo_u32 v27, v35, v27
	v_cmp_le_i32_e64 s1, v21, v24
	v_cmp_gt_i32_e64 s4, v20, v24
	s_delay_alu instid0(VALU_DEP_4) | instskip(SKIP_2) | instid1(VALU_DEP_4)
	v_cmp_le_i32_e64 s2, v37, v25
	v_cmp_gt_i32_e64 s3, v215, v25
	v_cndmask_b32_e64 v37, 0, v22, s0
	s_and_b32 s1, s1, s4
	v_add3_u32 v5, v31, v5, v27
	s_delay_alu instid0(VALU_DEP_3) | instskip(SKIP_2) | instid1(VALU_DEP_1)
	s_and_b32 s0, s2, s3
	s_mov_b32 s2, exec_lo
	s_and_b32 s0, s5, s0
	v_lshlrev_b32_e32 v27, 2, v5
	s_and_b32 s0, s1, s0
	s_delay_alu instid0(SALU_CYCLE_1)
	s_and_b32 s0, vcc_lo, s0
.LBB9_12:                               ;   Parent Loop BB9_9 Depth=1
                                        ; =>  This Inner Loop Header: Depth=2
	v_readfirstlane_b32 s4, v0
	v_readfirstlane_b32 s5, v1
	;; [unrolled: 1-line block ×4, first 2 shown]
	s_delay_alu instid0(VALU_DEP_3) | instskip(NEXT) | instid1(VALU_DEP_2)
	v_cmp_eq_u64_e32 vcc_lo, s[4:5], v[0:1]
	v_cmp_eq_u64_e64 s1, s[6:7], v[16:17]
	s_delay_alu instid0(VALU_DEP_1) | instskip(NEXT) | instid1(SALU_CYCLE_1)
	s_and_b32 s1, vcc_lo, s1
	s_and_saveexec_b32 s1, s1
	buffer_load_b128 v[20:23], v27, s[4:7], 0 offen
                                        ; implicit-def: $vgpr27
	s_xor_b32 exec_lo, exec_lo, s1
	s_cbranch_execnz .LBB9_12
; %bb.13:                               ;   in Loop: Header=BB9_9 Depth=1
	s_mov_b32 exec_lo, s2
	s_clause 0x1
	flat_load_b32 v28, v[10:11] offset:32
	flat_load_b32 v27, v[10:11] offset:20
	s_waitcnt vmcnt(2)
	v_cndmask_b32_e64 v210, 0, v23, s0
	v_cndmask_b32_e64 v211, 0, v22, s0
	;; [unrolled: 1-line block ×3, first 2 shown]
	v_lshlrev_b32_e32 v31, 2, v214
	s_mov_b32 s3, exec_lo
	s_waitcnt vmcnt(1) lgkmcnt(1)
	v_cmp_gt_i32_e64 s1, v28, v208
	s_waitcnt vmcnt(0) lgkmcnt(0)
	v_cmp_gt_i32_e32 vcc_lo, v27, v180
	v_cndmask_b32_e64 v27, 0, v20, s0
	s_delay_alu instid0(VALU_DEP_3)
	s_and_b32 s0, vcc_lo, s1
.LBB9_14:                               ;   Parent Loop BB9_9 Depth=1
                                        ; =>  This Inner Loop Header: Depth=2
	v_readfirstlane_b32 s4, v2
	v_readfirstlane_b32 s5, v3
	;; [unrolled: 1-line block ×4, first 2 shown]
	s_delay_alu instid0(VALU_DEP_3) | instskip(NEXT) | instid1(VALU_DEP_2)
	v_cmp_eq_u64_e64 s1, s[4:5], v[2:3]
	v_cmp_eq_u64_e64 s2, s[6:7], v[29:30]
	s_delay_alu instid0(VALU_DEP_1) | instskip(NEXT) | instid1(SALU_CYCLE_1)
	s_and_b32 s1, s1, s2
	s_and_saveexec_b32 s1, s1
	buffer_load_b128 v[20:23], v31, s[4:7], 0 offen
                                        ; implicit-def: $vgpr31
	s_xor_b32 exec_lo, exec_lo, s1
	s_cbranch_execnz .LBB9_14
; %bb.15:                               ;   in Loop: Header=BB9_9 Depth=1
	s_mov_b32 exec_lo, s3
	v_lshlrev_b32_e32 v31, 2, v209
	s_waitcnt vmcnt(0)
	v_cndmask_b32_e64 v213, 0, v23, s0
	v_cndmask_b32_e64 v215, 0, v21, s0
	;; [unrolled: 1-line block ×3, first 2 shown]
	s_mov_b32 s2, exec_lo
	v_add_nc_u32_e32 v209, v31, v208
	v_add_nc_u32_e32 v208, v31, v214
	v_cndmask_b32_e64 v214, 0, v22, s0
	s_delay_alu instid0(VALU_DEP_3) | instskip(NEXT) | instid1(VALU_DEP_3)
	v_cmp_gt_i32_e64 s1, v28, v209
	v_lshlrev_b32_e32 v28, 2, v208
	s_delay_alu instid0(VALU_DEP_2)
	s_and_b32 vcc_lo, vcc_lo, s1
.LBB9_16:                               ;   Parent Loop BB9_9 Depth=1
                                        ; =>  This Inner Loop Header: Depth=2
	v_readfirstlane_b32 s4, v2
	v_readfirstlane_b32 s5, v3
	v_readfirstlane_b32 s6, v29
	v_readfirstlane_b32 s7, v30
	s_delay_alu instid0(VALU_DEP_3) | instskip(NEXT) | instid1(VALU_DEP_2)
	v_cmp_eq_u64_e64 s0, s[4:5], v[2:3]
	v_cmp_eq_u64_e64 s1, s[6:7], v[29:30]
	s_delay_alu instid0(VALU_DEP_1) | instskip(NEXT) | instid1(SALU_CYCLE_1)
	s_and_b32 s0, s0, s1
	s_and_saveexec_b32 s0, s0
	buffer_load_b128 v[20:23], v28, s[4:7], 0 offen
                                        ; implicit-def: $vgpr28
	s_xor_b32 exec_lo, exec_lo, s0
	s_cbranch_execnz .LBB9_16
; %bb.17:                               ;   in Loop: Header=BB9_9 Depth=1
	s_mov_b32 exec_lo, s2
	s_waitcnt vmcnt(0) lgkmcnt(0)
	s_waitcnt_vscnt null, 0x0
	s_barrier
	ds_load_b128 v[31:34], v177
	ds_load_b128 v[225:228], v178 offset:16384
	ds_load_b128 v[240:243], v178 offset:16640
	;; [unrolled: 1-line block ×3, first 2 shown]
	v_dual_cndmask_b32 v21, 0, v21 :: v_dual_cndmask_b32 v20, 0, v20
	v_dual_cndmask_b32 v23, 0, v23 :: v_dual_cndmask_b32 v22, 0, v22
	s_waitcnt lgkmcnt(2)
	;;#ASMSTART
	
             v_fmac_f32 v167, v31, v225 
             
	;;#ASMEND
	;;#ASMSTART
	
             v_fmac_f32 v176, v31, v226 
             
	;;#ASMEND
	;;#ASMSTART
	
             v_fmac_f32 v165, v31, v227 
             
	;;#ASMEND
	;;#ASMSTART
	
             v_fmac_f32 v166, v31, v228 
             
	;;#ASMEND
	;;#ASMSTART
	
             v_fmac_f32 v160, v32, v225 
             
	;;#ASMEND
	;;#ASMSTART
	
             v_fmac_f32 v151, v32, v226 
             
	;;#ASMEND
	;;#ASMSTART
	
             v_fmac_f32 v150, v32, v227 
             
	;;#ASMEND
	;;#ASMSTART
	
             v_fmac_f32 v149, v32, v228 
             
	;;#ASMEND
	;;#ASMSTART
	
             v_fmac_f32 v55, v33, v225 
             
	;;#ASMEND
	;;#ASMSTART
	
             v_fmac_f32 v54, v33, v226 
             
	;;#ASMEND
	;;#ASMSTART
	
             v_fmac_f32 v53, v33, v227 
             
	;;#ASMEND
	;;#ASMSTART
	
             v_fmac_f32 v52, v33, v228 
             
	;;#ASMEND
	;;#ASMSTART
	
             v_fmac_f32 v146, v34, v225 
             
	;;#ASMEND
	;;#ASMSTART
	
             v_fmac_f32 v145, v34, v226 
             
	;;#ASMEND
	;;#ASMSTART
	
             v_fmac_f32 v144, v34, v227 
             
	;;#ASMEND
	;;#ASMSTART
	
             v_fmac_f32 v135, v34, v228 
             
	;;#ASMEND
	s_waitcnt lgkmcnt(1)
	;;#ASMSTART
	
             v_fmac_f32 v163, v31, v240 
             
	;;#ASMEND
	;;#ASMSTART
	
             v_fmac_f32 v164, v31, v241 
             
	;;#ASMEND
	;; [unrolled: 5-line block ×16, first 2 shown]
	ds_load_b128 v[31:34], v177 offset:512
	s_waitcnt lgkmcnt(1)
	;;#ASMSTART
	
             v_fmac_f32 v131, v244, v225 
             
	;;#ASMEND
	;;#ASMSTART
	
             v_fmac_f32 v134, v244, v226 
             
	;;#ASMEND
	;; [unrolled: 5-line block ×16, first 2 shown]
	ds_load_b128 v[225:228], v178 offset:16896
	;;#ASMSTART
	
             v_fmac_f32 v50, v244, v240 
             
	;;#ASMEND
	;;#ASMSTART
	
             v_fmac_f32 v51, v244, v241 
             
	;;#ASMEND
	;; [unrolled: 5-line block ×16, first 2 shown]
	ds_load_b128 v[240:243], v178 offset:17152
	ds_load_b128 v[244:247], v177 offset:768
	s_waitcnt lgkmcnt(2)
	;;#ASMSTART
	
             v_fmac_f32 v167, v31, v225 
             
	;;#ASMEND
	;;#ASMSTART
	
             v_fmac_f32 v176, v31, v226 
             
	;;#ASMEND
	;; [unrolled: 5-line block ×16, first 2 shown]
	s_waitcnt lgkmcnt(1)
	;;#ASMSTART
	
             v_fmac_f32 v163, v31, v240 
             
	;;#ASMEND
	;;#ASMSTART
	
             v_fmac_f32 v164, v31, v241 
             
	;;#ASMEND
	;; [unrolled: 5-line block ×16, first 2 shown]
	ds_load_b128 v[31:34], v177 offset:1024
	s_waitcnt lgkmcnt(1)
	;;#ASMSTART
	
             v_fmac_f32 v131, v244, v225 
             
	;;#ASMEND
	;;#ASMSTART
	
             v_fmac_f32 v134, v244, v226 
             
	;;#ASMEND
	;;#ASMSTART
	
             v_fmac_f32 v133, v244, v227 
             
	;;#ASMEND
	;;#ASMSTART
	
             v_fmac_f32 v132, v244, v228 
             
	;;#ASMEND
	;;#ASMSTART
	
             v_fmac_f32 v67, v245, v225 
             
	;;#ASMEND
	;;#ASMSTART
	
             v_fmac_f32 v66, v245, v226 
             
	;;#ASMEND
	;;#ASMSTART
	
             v_fmac_f32 v65, v245, v227 
             
	;;#ASMEND
	;;#ASMSTART
	
             v_fmac_f32 v64, v245, v228 
             
	;;#ASMEND
	;;#ASMSTART
	
             v_fmac_f32 v103, v246, v225 
             
	;;#ASMEND
	;;#ASMSTART
	
             v_fmac_f32 v102, v246, v226 
             
	;;#ASMEND
	;;#ASMSTART
	
             v_fmac_f32 v101, v246, v227 
             
	;;#ASMEND
	;;#ASMSTART
	
             v_fmac_f32 v100, v246, v228 
             
	;;#ASMEND
	;;#ASMSTART
	
             v_fmac_f32 v119, v247, v225 
             
	;;#ASMEND
	;;#ASMSTART
	
             v_fmac_f32 v118, v247, v226 
             
	;;#ASMEND
	;;#ASMSTART
	
             v_fmac_f32 v116, v247, v227 
             
	;;#ASMEND
	;;#ASMSTART
	
             v_fmac_f32 v117, v247, v228 
             
	;;#ASMEND
	ds_load_b128 v[225:228], v178 offset:17408
	;;#ASMSTART
	
             v_fmac_f32 v50, v244, v240 
             
	;;#ASMEND
	;;#ASMSTART
	
             v_fmac_f32 v51, v244, v241 
             
	;;#ASMEND
	;; [unrolled: 5-line block ×16, first 2 shown]
	ds_load_b128 v[240:243], v178 offset:17664
	ds_load_b128 v[244:247], v177 offset:1280
	s_waitcnt lgkmcnt(2)
	;;#ASMSTART
	
             v_fmac_f32 v167, v31, v225 
             
	;;#ASMEND
	;;#ASMSTART
	
             v_fmac_f32 v176, v31, v226 
             
	;;#ASMEND
	;; [unrolled: 5-line block ×16, first 2 shown]
	s_waitcnt lgkmcnt(1)
	;;#ASMSTART
	
             v_fmac_f32 v163, v31, v240 
             
	;;#ASMEND
	;;#ASMSTART
	
             v_fmac_f32 v164, v31, v241 
             
	;;#ASMEND
	;; [unrolled: 5-line block ×16, first 2 shown]
	ds_load_b128 v[31:34], v177 offset:1536
	s_waitcnt lgkmcnt(1)
	;;#ASMSTART
	
             v_fmac_f32 v131, v244, v225 
             
	;;#ASMEND
	;;#ASMSTART
	
             v_fmac_f32 v134, v244, v226 
             
	;;#ASMEND
	;; [unrolled: 5-line block ×16, first 2 shown]
	ds_load_b128 v[225:228], v178 offset:17920
	;;#ASMSTART
	
             v_fmac_f32 v50, v244, v240 
             
	;;#ASMEND
	;;#ASMSTART
	
             v_fmac_f32 v51, v244, v241 
             
	;;#ASMEND
	;; [unrolled: 5-line block ×16, first 2 shown]
	ds_load_b128 v[240:243], v178 offset:18176
	ds_load_b128 v[244:247], v177 offset:1792
	s_waitcnt lgkmcnt(2)
	;;#ASMSTART
	
             v_fmac_f32 v167, v31, v225 
             
	;;#ASMEND
	;;#ASMSTART
	
             v_fmac_f32 v176, v31, v226 
             
	;;#ASMEND
	;; [unrolled: 5-line block ×16, first 2 shown]
	s_waitcnt lgkmcnt(1)
	;;#ASMSTART
	
             v_fmac_f32 v163, v31, v240 
             
	;;#ASMEND
	;;#ASMSTART
	
             v_fmac_f32 v164, v31, v241 
             
	;;#ASMEND
	;;#ASMSTART
	
             v_fmac_f32 v161, v31, v242 
             
	;;#ASMEND
	;;#ASMSTART
	
             v_fmac_f32 v162, v31, v243 
             
	;;#ASMEND
	;;#ASMSTART
	
             v_fmac_f32 v147, v32, v240 
             
	;;#ASMEND
	;;#ASMSTART
	
             v_fmac_f32 v148, v32, v241 
             
	;;#ASMEND
	;;#ASMSTART
	
             v_fmac_f32 v82, v32, v242 
             
	;;#ASMEND
	;;#ASMSTART
	
             v_fmac_f32 v83, v32, v243 
             
	;;#ASMEND
	;;#ASMSTART
	
             v_fmac_f32 v70, v33, v240 
             
	;;#ASMEND
	;;#ASMSTART
	
             v_fmac_f32 v71, v33, v241 
             
	;;#ASMEND
	;;#ASMSTART
	
             v_fmac_f32 v68, v33, v242 
             
	;;#ASMEND
	;;#ASMSTART
	
             v_fmac_f32 v69, v33, v243 
             
	;;#ASMEND
	;;#ASMSTART
	
             v_fmac_f32 v87, v34, v240 
             
	;;#ASMEND
	;;#ASMSTART
	
             v_fmac_f32 v86, v34, v241 
             
	;;#ASMEND
	;;#ASMSTART
	
             v_fmac_f32 v84, v34, v242 
             
	;;#ASMEND
	;;#ASMSTART
	
             v_fmac_f32 v85, v34, v243 
             
	;;#ASMEND
	ds_load_b128 v[31:34], v177 offset:2048
	s_waitcnt lgkmcnt(1)
	;;#ASMSTART
	
             v_fmac_f32 v131, v244, v225 
             
	;;#ASMEND
	;;#ASMSTART
	
             v_fmac_f32 v134, v244, v226 
             
	;;#ASMEND
	;; [unrolled: 5-line block ×16, first 2 shown]
	ds_load_b128 v[225:228], v178 offset:18432
	;;#ASMSTART
	
             v_fmac_f32 v50, v244, v240 
             
	;;#ASMEND
	;;#ASMSTART
	
             v_fmac_f32 v51, v244, v241 
             
	;;#ASMEND
	;;#ASMSTART
	
             v_fmac_f32 v48, v244, v242 
             
	;;#ASMEND
	;;#ASMSTART
	
             v_fmac_f32 v49, v244, v243 
             
	;;#ASMEND
	;;#ASMSTART
	
             v_fmac_f32 v98, v245, v240 
             
	;;#ASMEND
	;;#ASMSTART
	
             v_fmac_f32 v99, v245, v241 
             
	;;#ASMEND
	;;#ASMSTART
	
             v_fmac_f32 v96, v245, v242 
             
	;;#ASMEND
	;;#ASMSTART
	
             v_fmac_f32 v97, v245, v243 
             
	;;#ASMEND
	;;#ASMSTART
	
             v_fmac_f32 v114, v246, v240 
             
	;;#ASMEND
	;;#ASMSTART
	
             v_fmac_f32 v115, v246, v241 
             
	;;#ASMEND
	;;#ASMSTART
	
             v_fmac_f32 v112, v246, v242 
             
	;;#ASMEND
	;;#ASMSTART
	
             v_fmac_f32 v113, v246, v243 
             
	;;#ASMEND
	;;#ASMSTART
	
             v_fmac_f32 v129, v247, v240 
             
	;;#ASMEND
	;;#ASMSTART
	
             v_fmac_f32 v39, v247, v241 
             
	;;#ASMEND
	;;#ASMSTART
	
             v_fmac_f32 v128, v247, v242 
             
	;;#ASMEND
	;;#ASMSTART
	
             v_fmac_f32 v130, v247, v243 
             
	;;#ASMEND
	ds_load_b128 v[240:243], v178 offset:18688
	ds_load_b128 v[244:247], v177 offset:2304
	s_waitcnt lgkmcnt(2)
	;;#ASMSTART
	
             v_fmac_f32 v167, v31, v225 
             
	;;#ASMEND
	;;#ASMSTART
	
             v_fmac_f32 v176, v31, v226 
             
	;;#ASMEND
	;;#ASMSTART
	
             v_fmac_f32 v165, v31, v227 
             
	;;#ASMEND
	;;#ASMSTART
	
             v_fmac_f32 v166, v31, v228 
             
	;;#ASMEND
	;;#ASMSTART
	
             v_fmac_f32 v160, v32, v225 
             
	;;#ASMEND
	;;#ASMSTART
	
             v_fmac_f32 v151, v32, v226 
             
	;;#ASMEND
	;;#ASMSTART
	
             v_fmac_f32 v150, v32, v227 
             
	;;#ASMEND
	;;#ASMSTART
	
             v_fmac_f32 v149, v32, v228 
             
	;;#ASMEND
	;;#ASMSTART
	
             v_fmac_f32 v55, v33, v225 
             
	;;#ASMEND
	;;#ASMSTART
	
             v_fmac_f32 v54, v33, v226 
             
	;;#ASMEND
	;;#ASMSTART
	
             v_fmac_f32 v53, v33, v227 
             
	;;#ASMEND
	;;#ASMSTART
	
             v_fmac_f32 v52, v33, v228 
             
	;;#ASMEND
	;;#ASMSTART
	
             v_fmac_f32 v146, v34, v225 
             
	;;#ASMEND
	;;#ASMSTART
	
             v_fmac_f32 v145, v34, v226 
             
	;;#ASMEND
	;;#ASMSTART
	
             v_fmac_f32 v144, v34, v227 
             
	;;#ASMEND
	;;#ASMSTART
	
             v_fmac_f32 v135, v34, v228 
             
	;;#ASMEND
	s_waitcnt lgkmcnt(1)
	;;#ASMSTART
	
             v_fmac_f32 v163, v31, v240 
             
	;;#ASMEND
	;;#ASMSTART
	
             v_fmac_f32 v164, v31, v241 
             
	;;#ASMEND
	;; [unrolled: 5-line block ×16, first 2 shown]
	ds_load_b128 v[31:34], v177 offset:2560
	s_waitcnt lgkmcnt(1)
	;;#ASMSTART
	
             v_fmac_f32 v131, v244, v225 
             
	;;#ASMEND
	;;#ASMSTART
	
             v_fmac_f32 v134, v244, v226 
             
	;;#ASMEND
	;; [unrolled: 5-line block ×16, first 2 shown]
	ds_load_b128 v[225:228], v178 offset:18944
	;;#ASMSTART
	
             v_fmac_f32 v50, v244, v240 
             
	;;#ASMEND
	;;#ASMSTART
	
             v_fmac_f32 v51, v244, v241 
             
	;;#ASMEND
	;; [unrolled: 5-line block ×16, first 2 shown]
	ds_load_b128 v[240:243], v178 offset:19200
	ds_load_b128 v[244:247], v177 offset:2816
	s_waitcnt lgkmcnt(2)
	;;#ASMSTART
	
             v_fmac_f32 v167, v31, v225 
             
	;;#ASMEND
	;;#ASMSTART
	
             v_fmac_f32 v176, v31, v226 
             
	;;#ASMEND
	;; [unrolled: 5-line block ×16, first 2 shown]
	s_waitcnt lgkmcnt(1)
	;;#ASMSTART
	
             v_fmac_f32 v163, v31, v240 
             
	;;#ASMEND
	;;#ASMSTART
	
             v_fmac_f32 v164, v31, v241 
             
	;;#ASMEND
	;; [unrolled: 5-line block ×16, first 2 shown]
	ds_load_b128 v[31:34], v177 offset:3072
	s_waitcnt lgkmcnt(1)
	;;#ASMSTART
	
             v_fmac_f32 v131, v244, v225 
             
	;;#ASMEND
	;;#ASMSTART
	
             v_fmac_f32 v134, v244, v226 
             
	;;#ASMEND
	;; [unrolled: 5-line block ×16, first 2 shown]
	ds_load_b128 v[225:228], v178 offset:19456
	;;#ASMSTART
	
             v_fmac_f32 v50, v244, v240 
             
	;;#ASMEND
	;;#ASMSTART
	
             v_fmac_f32 v51, v244, v241 
             
	;;#ASMEND
	;; [unrolled: 5-line block ×16, first 2 shown]
	ds_load_b128 v[240:243], v178 offset:19712
	ds_load_b128 v[244:247], v177 offset:3328
	s_waitcnt lgkmcnt(2)
	;;#ASMSTART
	
             v_fmac_f32 v167, v31, v225 
             
	;;#ASMEND
	;;#ASMSTART
	
             v_fmac_f32 v176, v31, v226 
             
	;;#ASMEND
	;; [unrolled: 5-line block ×16, first 2 shown]
	s_waitcnt lgkmcnt(1)
	;;#ASMSTART
	
             v_fmac_f32 v163, v31, v240 
             
	;;#ASMEND
	;;#ASMSTART
	
             v_fmac_f32 v164, v31, v241 
             
	;;#ASMEND
	;; [unrolled: 5-line block ×16, first 2 shown]
	ds_load_b128 v[31:34], v177 offset:3584
	s_waitcnt lgkmcnt(1)
	;;#ASMSTART
	
             v_fmac_f32 v131, v244, v225 
             
	;;#ASMEND
	;;#ASMSTART
	
             v_fmac_f32 v134, v244, v226 
             
	;;#ASMEND
	;; [unrolled: 5-line block ×16, first 2 shown]
	ds_load_b128 v[225:228], v178 offset:19968
	;;#ASMSTART
	
             v_fmac_f32 v50, v244, v240 
             
	;;#ASMEND
	;;#ASMSTART
	
             v_fmac_f32 v51, v244, v241 
             
	;;#ASMEND
	;;#ASMSTART
	
             v_fmac_f32 v48, v244, v242 
             
	;;#ASMEND
	;;#ASMSTART
	
             v_fmac_f32 v49, v244, v243 
             
	;;#ASMEND
	;;#ASMSTART
	
             v_fmac_f32 v98, v245, v240 
             
	;;#ASMEND
	;;#ASMSTART
	
             v_fmac_f32 v99, v245, v241 
             
	;;#ASMEND
	;;#ASMSTART
	
             v_fmac_f32 v96, v245, v242 
             
	;;#ASMEND
	;;#ASMSTART
	
             v_fmac_f32 v97, v245, v243 
             
	;;#ASMEND
	;;#ASMSTART
	
             v_fmac_f32 v114, v246, v240 
             
	;;#ASMEND
	;;#ASMSTART
	
             v_fmac_f32 v115, v246, v241 
             
	;;#ASMEND
	;;#ASMSTART
	
             v_fmac_f32 v112, v246, v242 
             
	;;#ASMEND
	;;#ASMSTART
	
             v_fmac_f32 v113, v246, v243 
             
	;;#ASMEND
	;;#ASMSTART
	
             v_fmac_f32 v129, v247, v240 
             
	;;#ASMEND
	;;#ASMSTART
	
             v_fmac_f32 v39, v247, v241 
             
	;;#ASMEND
	;;#ASMSTART
	
             v_fmac_f32 v128, v247, v242 
             
	;;#ASMEND
	;;#ASMSTART
	
             v_fmac_f32 v130, v247, v243 
             
	;;#ASMEND
	ds_load_b128 v[240:243], v178 offset:20224
	ds_load_b128 v[244:247], v177 offset:3840
	s_waitcnt lgkmcnt(2)
	;;#ASMSTART
	
             v_fmac_f32 v167, v31, v225 
             
	;;#ASMEND
	;;#ASMSTART
	
             v_fmac_f32 v176, v31, v226 
             
	;;#ASMEND
	;; [unrolled: 5-line block ×16, first 2 shown]
	s_waitcnt lgkmcnt(1)
	;;#ASMSTART
	
             v_fmac_f32 v163, v31, v240 
             
	;;#ASMEND
	;;#ASMSTART
	
             v_fmac_f32 v164, v31, v241 
             
	;;#ASMEND
	;; [unrolled: 5-line block ×16, first 2 shown]
	ds_load_b128 v[31:34], v177 offset:4096
	s_waitcnt lgkmcnt(1)
	;;#ASMSTART
	
             v_fmac_f32 v131, v244, v225 
             
	;;#ASMEND
	;;#ASMSTART
	
             v_fmac_f32 v134, v244, v226 
             
	;;#ASMEND
	;; [unrolled: 5-line block ×16, first 2 shown]
	ds_load_b128 v[225:228], v178 offset:20480
	;;#ASMSTART
	
             v_fmac_f32 v50, v244, v240 
             
	;;#ASMEND
	;;#ASMSTART
	
             v_fmac_f32 v51, v244, v241 
             
	;;#ASMEND
	;; [unrolled: 5-line block ×16, first 2 shown]
	ds_load_b128 v[240:243], v178 offset:20736
	ds_load_b128 v[244:247], v177 offset:4352
	s_waitcnt lgkmcnt(2)
	;;#ASMSTART
	
             v_fmac_f32 v167, v31, v225 
             
	;;#ASMEND
	;;#ASMSTART
	
             v_fmac_f32 v176, v31, v226 
             
	;;#ASMEND
	;; [unrolled: 5-line block ×16, first 2 shown]
	s_waitcnt lgkmcnt(1)
	;;#ASMSTART
	
             v_fmac_f32 v163, v31, v240 
             
	;;#ASMEND
	;;#ASMSTART
	
             v_fmac_f32 v164, v31, v241 
             
	;;#ASMEND
	;; [unrolled: 5-line block ×16, first 2 shown]
	ds_load_b128 v[31:34], v177 offset:4608
	s_waitcnt lgkmcnt(1)
	;;#ASMSTART
	
             v_fmac_f32 v131, v244, v225 
             
	;;#ASMEND
	;;#ASMSTART
	
             v_fmac_f32 v134, v244, v226 
             
	;;#ASMEND
	;; [unrolled: 5-line block ×16, first 2 shown]
	ds_load_b128 v[225:228], v178 offset:20992
	;;#ASMSTART
	
             v_fmac_f32 v50, v244, v240 
             
	;;#ASMEND
	;;#ASMSTART
	
             v_fmac_f32 v51, v244, v241 
             
	;;#ASMEND
	;;#ASMSTART
	
             v_fmac_f32 v48, v244, v242 
             
	;;#ASMEND
	;;#ASMSTART
	
             v_fmac_f32 v49, v244, v243 
             
	;;#ASMEND
	;;#ASMSTART
	
             v_fmac_f32 v98, v245, v240 
             
	;;#ASMEND
	;;#ASMSTART
	
             v_fmac_f32 v99, v245, v241 
             
	;;#ASMEND
	;;#ASMSTART
	
             v_fmac_f32 v96, v245, v242 
             
	;;#ASMEND
	;;#ASMSTART
	
             v_fmac_f32 v97, v245, v243 
             
	;;#ASMEND
	;;#ASMSTART
	
             v_fmac_f32 v114, v246, v240 
             
	;;#ASMEND
	;;#ASMSTART
	
             v_fmac_f32 v115, v246, v241 
             
	;;#ASMEND
	;;#ASMSTART
	
             v_fmac_f32 v112, v246, v242 
             
	;;#ASMEND
	;;#ASMSTART
	
             v_fmac_f32 v113, v246, v243 
             
	;;#ASMEND
	;;#ASMSTART
	
             v_fmac_f32 v129, v247, v240 
             
	;;#ASMEND
	;;#ASMSTART
	
             v_fmac_f32 v39, v247, v241 
             
	;;#ASMEND
	;;#ASMSTART
	
             v_fmac_f32 v128, v247, v242 
             
	;;#ASMEND
	;;#ASMSTART
	
             v_fmac_f32 v130, v247, v243 
             
	;;#ASMEND
	ds_load_b128 v[240:243], v178 offset:21248
	ds_load_b128 v[244:247], v177 offset:4864
	s_waitcnt lgkmcnt(2)
	;;#ASMSTART
	
             v_fmac_f32 v167, v31, v225 
             
	;;#ASMEND
	;;#ASMSTART
	
             v_fmac_f32 v176, v31, v226 
             
	;;#ASMEND
	;; [unrolled: 5-line block ×16, first 2 shown]
	s_waitcnt lgkmcnt(1)
	;;#ASMSTART
	
             v_fmac_f32 v163, v31, v240 
             
	;;#ASMEND
	;;#ASMSTART
	
             v_fmac_f32 v164, v31, v241 
             
	;;#ASMEND
	;; [unrolled: 5-line block ×16, first 2 shown]
	ds_load_b128 v[31:34], v177 offset:5120
	s_waitcnt lgkmcnt(1)
	;;#ASMSTART
	
             v_fmac_f32 v131, v244, v225 
             
	;;#ASMEND
	;;#ASMSTART
	
             v_fmac_f32 v134, v244, v226 
             
	;;#ASMEND
	;; [unrolled: 5-line block ×16, first 2 shown]
	ds_load_b128 v[225:228], v178 offset:21504
	;;#ASMSTART
	
             v_fmac_f32 v50, v244, v240 
             
	;;#ASMEND
	;;#ASMSTART
	
             v_fmac_f32 v51, v244, v241 
             
	;;#ASMEND
	;; [unrolled: 5-line block ×16, first 2 shown]
	ds_load_b128 v[240:243], v178 offset:21760
	ds_load_b128 v[244:247], v177 offset:5376
	s_waitcnt lgkmcnt(2)
	;;#ASMSTART
	
             v_fmac_f32 v167, v31, v225 
             
	;;#ASMEND
	;;#ASMSTART
	
             v_fmac_f32 v176, v31, v226 
             
	;;#ASMEND
	;; [unrolled: 5-line block ×16, first 2 shown]
	s_waitcnt lgkmcnt(1)
	;;#ASMSTART
	
             v_fmac_f32 v163, v31, v240 
             
	;;#ASMEND
	;;#ASMSTART
	
             v_fmac_f32 v164, v31, v241 
             
	;;#ASMEND
	;; [unrolled: 5-line block ×16, first 2 shown]
	ds_load_b128 v[31:34], v177 offset:5632
	s_waitcnt lgkmcnt(1)
	;;#ASMSTART
	
             v_fmac_f32 v131, v244, v225 
             
	;;#ASMEND
	;;#ASMSTART
	
             v_fmac_f32 v134, v244, v226 
             
	;;#ASMEND
	;; [unrolled: 5-line block ×16, first 2 shown]
	ds_load_b128 v[225:228], v178 offset:22016
	;;#ASMSTART
	
             v_fmac_f32 v50, v244, v240 
             
	;;#ASMEND
	;;#ASMSTART
	
             v_fmac_f32 v51, v244, v241 
             
	;;#ASMEND
	;; [unrolled: 5-line block ×16, first 2 shown]
	ds_load_b128 v[240:243], v178 offset:22272
	ds_load_b128 v[244:247], v177 offset:5888
	s_waitcnt lgkmcnt(2)
	;;#ASMSTART
	
             v_fmac_f32 v167, v31, v225 
             
	;;#ASMEND
	;;#ASMSTART
	
             v_fmac_f32 v176, v31, v226 
             
	;;#ASMEND
	;; [unrolled: 5-line block ×16, first 2 shown]
	s_waitcnt lgkmcnt(1)
	;;#ASMSTART
	
             v_fmac_f32 v163, v31, v240 
             
	;;#ASMEND
	;;#ASMSTART
	
             v_fmac_f32 v164, v31, v241 
             
	;;#ASMEND
	;; [unrolled: 5-line block ×16, first 2 shown]
	ds_load_b128 v[31:34], v177 offset:6144
	s_waitcnt lgkmcnt(1)
	;;#ASMSTART
	
             v_fmac_f32 v131, v244, v225 
             
	;;#ASMEND
	;;#ASMSTART
	
             v_fmac_f32 v134, v244, v226 
             
	;;#ASMEND
	;;#ASMSTART
	
             v_fmac_f32 v133, v244, v227 
             
	;;#ASMEND
	;;#ASMSTART
	
             v_fmac_f32 v132, v244, v228 
             
	;;#ASMEND
	;;#ASMSTART
	
             v_fmac_f32 v67, v245, v225 
             
	;;#ASMEND
	;;#ASMSTART
	
             v_fmac_f32 v66, v245, v226 
             
	;;#ASMEND
	;;#ASMSTART
	
             v_fmac_f32 v65, v245, v227 
             
	;;#ASMEND
	;;#ASMSTART
	
             v_fmac_f32 v64, v245, v228 
             
	;;#ASMEND
	;;#ASMSTART
	
             v_fmac_f32 v103, v246, v225 
             
	;;#ASMEND
	;;#ASMSTART
	
             v_fmac_f32 v102, v246, v226 
             
	;;#ASMEND
	;;#ASMSTART
	
             v_fmac_f32 v101, v246, v227 
             
	;;#ASMEND
	;;#ASMSTART
	
             v_fmac_f32 v100, v246, v228 
             
	;;#ASMEND
	;;#ASMSTART
	
             v_fmac_f32 v119, v247, v225 
             
	;;#ASMEND
	;;#ASMSTART
	
             v_fmac_f32 v118, v247, v226 
             
	;;#ASMEND
	;;#ASMSTART
	
             v_fmac_f32 v116, v247, v227 
             
	;;#ASMEND
	;;#ASMSTART
	
             v_fmac_f32 v117, v247, v228 
             
	;;#ASMEND
	ds_load_b128 v[225:228], v178 offset:22528
	;;#ASMSTART
	
             v_fmac_f32 v50, v244, v240 
             
	;;#ASMEND
	;;#ASMSTART
	
             v_fmac_f32 v51, v244, v241 
             
	;;#ASMEND
	;; [unrolled: 5-line block ×16, first 2 shown]
	ds_load_b128 v[240:243], v178 offset:22784
	ds_load_b128 v[244:247], v177 offset:6400
	s_waitcnt lgkmcnt(2)
	;;#ASMSTART
	
             v_fmac_f32 v167, v31, v225 
             
	;;#ASMEND
	;;#ASMSTART
	
             v_fmac_f32 v176, v31, v226 
             
	;;#ASMEND
	;; [unrolled: 5-line block ×16, first 2 shown]
	s_waitcnt lgkmcnt(1)
	;;#ASMSTART
	
             v_fmac_f32 v163, v31, v240 
             
	;;#ASMEND
	;;#ASMSTART
	
             v_fmac_f32 v164, v31, v241 
             
	;;#ASMEND
	;; [unrolled: 5-line block ×16, first 2 shown]
	ds_load_b128 v[31:34], v177 offset:6656
	s_waitcnt lgkmcnt(1)
	;;#ASMSTART
	
             v_fmac_f32 v131, v244, v225 
             
	;;#ASMEND
	;;#ASMSTART
	
             v_fmac_f32 v134, v244, v226 
             
	;;#ASMEND
	;; [unrolled: 5-line block ×16, first 2 shown]
	ds_load_b128 v[225:228], v178 offset:23040
	;;#ASMSTART
	
             v_fmac_f32 v50, v244, v240 
             
	;;#ASMEND
	;;#ASMSTART
	
             v_fmac_f32 v51, v244, v241 
             
	;;#ASMEND
	;; [unrolled: 5-line block ×16, first 2 shown]
	ds_load_b128 v[240:243], v178 offset:23296
	ds_load_b128 v[244:247], v177 offset:6912
	s_waitcnt lgkmcnt(2)
	;;#ASMSTART
	
             v_fmac_f32 v167, v31, v225 
             
	;;#ASMEND
	;;#ASMSTART
	
             v_fmac_f32 v176, v31, v226 
             
	;;#ASMEND
	;; [unrolled: 5-line block ×16, first 2 shown]
	s_waitcnt lgkmcnt(1)
	;;#ASMSTART
	
             v_fmac_f32 v163, v31, v240 
             
	;;#ASMEND
	;;#ASMSTART
	
             v_fmac_f32 v164, v31, v241 
             
	;;#ASMEND
	;; [unrolled: 5-line block ×16, first 2 shown]
	ds_load_b128 v[31:34], v177 offset:7168
	s_waitcnt lgkmcnt(1)
	;;#ASMSTART
	
             v_fmac_f32 v131, v244, v225 
             
	;;#ASMEND
	;;#ASMSTART
	
             v_fmac_f32 v134, v244, v226 
             
	;;#ASMEND
	;; [unrolled: 5-line block ×16, first 2 shown]
	ds_load_b128 v[225:228], v178 offset:23552
	;;#ASMSTART
	
             v_fmac_f32 v50, v244, v240 
             
	;;#ASMEND
	;;#ASMSTART
	
             v_fmac_f32 v51, v244, v241 
             
	;;#ASMEND
	;; [unrolled: 5-line block ×16, first 2 shown]
	ds_load_b128 v[240:243], v178 offset:23808
	ds_load_b128 v[244:247], v177 offset:7424
	s_waitcnt lgkmcnt(2)
	;;#ASMSTART
	
             v_fmac_f32 v167, v31, v225 
             
	;;#ASMEND
	;;#ASMSTART
	
             v_fmac_f32 v176, v31, v226 
             
	;;#ASMEND
	;; [unrolled: 5-line block ×16, first 2 shown]
	s_waitcnt lgkmcnt(1)
	;;#ASMSTART
	
             v_fmac_f32 v163, v31, v240 
             
	;;#ASMEND
	;;#ASMSTART
	
             v_fmac_f32 v164, v31, v241 
             
	;;#ASMEND
	;;#ASMSTART
	
             v_fmac_f32 v161, v31, v242 
             
	;;#ASMEND
	;;#ASMSTART
	
             v_fmac_f32 v162, v31, v243 
             
	;;#ASMEND
	;;#ASMSTART
	
             v_fmac_f32 v147, v32, v240 
             
	;;#ASMEND
	;;#ASMSTART
	
             v_fmac_f32 v148, v32, v241 
             
	;;#ASMEND
	;;#ASMSTART
	
             v_fmac_f32 v82, v32, v242 
             
	;;#ASMEND
	;;#ASMSTART
	
             v_fmac_f32 v83, v32, v243 
             
	;;#ASMEND
	;;#ASMSTART
	
             v_fmac_f32 v70, v33, v240 
             
	;;#ASMEND
	;;#ASMSTART
	
             v_fmac_f32 v71, v33, v241 
             
	;;#ASMEND
	;;#ASMSTART
	
             v_fmac_f32 v68, v33, v242 
             
	;;#ASMEND
	;;#ASMSTART
	
             v_fmac_f32 v69, v33, v243 
             
	;;#ASMEND
	;;#ASMSTART
	
             v_fmac_f32 v87, v34, v240 
             
	;;#ASMEND
	;;#ASMSTART
	
             v_fmac_f32 v86, v34, v241 
             
	;;#ASMEND
	;;#ASMSTART
	
             v_fmac_f32 v84, v34, v242 
             
	;;#ASMEND
	;;#ASMSTART
	
             v_fmac_f32 v85, v34, v243 
             
	;;#ASMEND
	ds_load_b128 v[31:34], v177 offset:7680
	s_waitcnt lgkmcnt(1)
	;;#ASMSTART
	
             v_fmac_f32 v131, v244, v225 
             
	;;#ASMEND
	;;#ASMSTART
	
             v_fmac_f32 v134, v244, v226 
             
	;;#ASMEND
	;; [unrolled: 5-line block ×16, first 2 shown]
	ds_load_b128 v[225:228], v178 offset:24064
	;;#ASMSTART
	
             v_fmac_f32 v50, v244, v240 
             
	;;#ASMEND
	;;#ASMSTART
	
             v_fmac_f32 v51, v244, v241 
             
	;;#ASMEND
	;; [unrolled: 5-line block ×16, first 2 shown]
	ds_load_b128 v[240:243], v178 offset:24320
	ds_load_b128 v[244:247], v177 offset:7936
	s_waitcnt lgkmcnt(2)
	;;#ASMSTART
	
             v_fmac_f32 v167, v31, v225 
             
	;;#ASMEND
	;;#ASMSTART
	
             v_fmac_f32 v176, v31, v226 
             
	;;#ASMEND
	;; [unrolled: 5-line block ×16, first 2 shown]
	s_waitcnt lgkmcnt(1)
	;;#ASMSTART
	
             v_fmac_f32 v163, v31, v240 
             
	;;#ASMEND
	;;#ASMSTART
	
             v_fmac_f32 v164, v31, v241 
             
	;;#ASMEND
	;; [unrolled: 5-line block ×16, first 2 shown]
	s_waitcnt lgkmcnt(0)
	;;#ASMSTART
	
             v_fmac_f32 v131, v244, v225 
             
	;;#ASMEND
	;;#ASMSTART
	
             v_fmac_f32 v134, v244, v226 
             
	;;#ASMEND
	;; [unrolled: 5-line block ×32, first 2 shown]
	s_clause 0x5
	flat_load_b32 v225, v[8:9] offset:216
	flat_load_b64 v[33:34], v[8:9] offset:160
	flat_load_b64 v[31:32], v[8:9] offset:172
	;; [unrolled: 1-line block ×3, first 2 shown]
	flat_load_b32 v227, v[8:9] offset:76
	flat_load_b32 v226, v[8:9] offset:92
	ds_store_2addr_stride64_b32 v183, v26, v199 offset0:2 offset1:4
	ds_store_2addr_stride64_b32 v183, v38, v27 offset0:6 offset1:8
	flat_load_b96 v[26:28], v[8:9] offset:20
	ds_store_2addr_stride64_b32 v183, v212, v211 offset0:10 offset1:12
	ds_store_2addr_stride64_b32 v181, v37, v224 offset0:32 offset1:96
	;; [unrolled: 1-line block ×5, first 2 shown]
	ds_store_b32 v183, v210 offset:3584
	ds_store_b32 v192, v23 offset:3584
	s_clause 0x1
	flat_load_b128 v[20:23], v[8:9] offset:36
	flat_load_b64 v[37:38], v[8:9] offset:52
	flat_load_b32 v199, v[10:11] offset:48
	s_clause 0x1
	flat_load_b32 v210, v[8:9] offset:200
	flat_load_b32 v228, v[8:9] offset:188
	s_waitcnt vmcnt(11) lgkmcnt(20)
	v_mul_lo_u32 v211, v225, 12
	s_waitcnt vmcnt(4) lgkmcnt(4)
	v_sub_nc_u32_e32 v20, v20, v22
	s_delay_alu instid0(VALU_DEP_2)
	v_add_nc_u32_e32 v195, v211, v195
	v_add_nc_u32_e32 v198, v211, v198
	s_waitcnt vmcnt(3) lgkmcnt(3)
	v_sub_nc_u32_e32 v211, v23, v38
	s_waitcnt vmcnt(2) lgkmcnt(2)
	v_mul_lo_u32 v23, v199, 12
	v_mul_hi_u32 v212, v195, v34
	s_waitcnt vmcnt(1) lgkmcnt(1)
	v_cmp_lt_i32_e64 s1, v198, v210
	s_delay_alu instid0(VALU_DEP_3) | instskip(SKIP_1) | instid1(VALU_DEP_4)
	v_add_nc_u32_e32 v38, v23, v209
	v_add_nc_u32_e32 v209, v23, v208
	;; [unrolled: 1-line block ×3, first 2 shown]
	s_delay_alu instid0(VALU_DEP_1) | instskip(NEXT) | instid1(VALU_DEP_1)
	v_lshrrev_b32_e32 v212, v32, v212
	v_mul_hi_u32 v213, v212, v33
	v_mul_lo_u32 v215, v212, v36
	s_delay_alu instid0(VALU_DEP_2) | instskip(NEXT) | instid1(VALU_DEP_1)
	v_add_nc_u32_e32 v213, v212, v213
	v_lshrrev_b32_e32 v214, v31, v213
	s_delay_alu instid0(VALU_DEP_1) | instskip(SKIP_1) | instid1(VALU_DEP_1)
	v_mul_lo_u32 v213, v214, v35
	v_sub_nc_u32_e32 v194, v214, v194
	v_mul_lo_u32 v194, v194, v227
	s_delay_alu instid0(VALU_DEP_3) | instskip(SKIP_1) | instid1(VALU_DEP_2)
	v_sub_nc_u32_e32 v224, v212, v213
	v_sub_nc_u32_e32 v213, v195, v215
	;; [unrolled: 1-line block ×3, first 2 shown]
	s_delay_alu instid0(VALU_DEP_2) | instskip(SKIP_1) | instid1(VALU_DEP_3)
	v_sub_nc_u32_e32 v215, v213, v196
	v_mul_lo_u32 v229, v194, v26
	v_mul_lo_u32 v212, v197, v226
	s_delay_alu instid0(VALU_DEP_3) | instskip(SKIP_1) | instid1(VALU_DEP_3)
	v_mad_u64_u32 v[196:197], null, v28, v215, v[5:6]
	v_add_nc_u32_e32 v215, v194, v24
	v_mul_lo_u32 v230, v212, v27
	v_add_nc_u32_e32 v212, v212, v25
	s_delay_alu instid0(VALU_DEP_3) | instskip(SKIP_1) | instid1(VALU_DEP_3)
	v_cmp_le_i32_e64 s2, v21, v215
	v_cmp_gt_i32_e64 s3, v20, v215
	v_cmp_le_i32_e32 vcc_lo, v37, v212
	v_cmp_gt_i32_e64 s0, v211, v212
	v_add3_u32 v5, v196, v229, v230
	s_delay_alu instid0(VALU_DEP_2)
	s_and_b32 s0, vcc_lo, s0
	s_waitcnt vmcnt(0) lgkmcnt(0)
	v_cmp_lt_i32_e32 vcc_lo, v179, v228
	s_and_b32 s0, s1, s0
	s_and_b32 s1, s2, s3
	v_lshlrev_b32_e32 v194, 2, v5
	s_and_b32 s0, s0, s1
	s_mov_b32 s3, exec_lo
	s_and_b32 s0, vcc_lo, s0
.LBB9_18:                               ;   Parent Loop BB9_9 Depth=1
                                        ; =>  This Inner Loop Header: Depth=2
	v_readfirstlane_b32 s4, v0
	v_readfirstlane_b32 s5, v1
	v_readfirstlane_b32 s6, v16
	v_readfirstlane_b32 s7, v17
	s_delay_alu instid0(VALU_DEP_3) | instskip(NEXT) | instid1(VALU_DEP_2)
	v_cmp_eq_u64_e64 s1, s[4:5], v[0:1]
	v_cmp_eq_u64_e64 s2, s[6:7], v[16:17]
	s_delay_alu instid0(VALU_DEP_1) | instskip(NEXT) | instid1(SALU_CYCLE_1)
	s_and_b32 s1, s1, s2
	s_and_saveexec_b32 s1, s1
	buffer_load_b128 v[22:25], v194, s[4:7], 0 offen
                                        ; implicit-def: $vgpr194
	s_xor_b32 exec_lo, exec_lo, s1
	s_cbranch_execnz .LBB9_18
; %bb.19:                               ;   in Loop: Header=BB9_9 Depth=1
	s_mov_b32 exec_lo, s3
	v_lshlrev_b32_e32 v208, 2, v225
	s_delay_alu instid0(VALU_DEP_1) | instskip(SKIP_1) | instid1(VALU_DEP_2)
	v_add_nc_u32_e32 v194, v208, v195
	v_add_nc_u32_e32 v198, v208, v198
	v_mul_hi_u32 v34, v194, v34
	s_delay_alu instid0(VALU_DEP_2) | instskip(NEXT) | instid1(VALU_DEP_2)
	v_cmp_lt_i32_e64 s5, v198, v210
	v_add_nc_u32_e32 v34, v194, v34
	s_delay_alu instid0(VALU_DEP_1) | instskip(NEXT) | instid1(VALU_DEP_1)
	v_lshrrev_b32_e32 v32, v32, v34
	v_mul_hi_u32 v33, v32, v33
	s_delay_alu instid0(VALU_DEP_1) | instskip(NEXT) | instid1(VALU_DEP_1)
	v_add_nc_u32_e32 v33, v32, v33
	v_lshrrev_b32_e32 v195, v31, v33
	v_mul_lo_u32 v33, v32, v36
	s_delay_alu instid0(VALU_DEP_2) | instskip(NEXT) | instid1(VALU_DEP_2)
	v_mul_lo_u32 v31, v195, v35
	v_sub_nc_u32_e32 v197, v194, v33
	s_delay_alu instid0(VALU_DEP_2) | instskip(SKIP_1) | instid1(VALU_DEP_3)
	v_sub_nc_u32_e32 v196, v32, v31
	v_sub_nc_u32_e32 v31, v195, v214
	;; [unrolled: 1-line block ×3, first 2 shown]
	s_delay_alu instid0(VALU_DEP_3) | instskip(NEXT) | instid1(VALU_DEP_3)
	v_sub_nc_u32_e32 v32, v196, v224
	v_mul_lo_u32 v35, v31, v227
	s_waitcnt vmcnt(0)
	v_cndmask_b32_e64 v31, 0, v25, s0
	v_mad_u64_u32 v[33:34], null, v28, v36, v[5:6]
	v_mul_lo_u32 v213, v32, v226
	v_cndmask_b32_e64 v32, 0, v24, s0
	v_mul_lo_u32 v5, v35, v26
	v_add_nc_u32_e32 v24, v35, v215
	v_cndmask_b32_e64 v26, 0, v23, s0
	v_add_nc_u32_e32 v25, v213, v212
	v_mul_lo_u32 v27, v213, v27
	s_delay_alu instid0(VALU_DEP_4) | instskip(SKIP_1) | instid1(VALU_DEP_4)
	v_cmp_le_i32_e64 s1, v21, v24
	v_cmp_gt_i32_e64 s4, v20, v24
	v_cmp_le_i32_e64 s2, v37, v25
	v_cmp_gt_i32_e64 s3, v211, v25
	s_delay_alu instid0(VALU_DEP_3) | instskip(SKIP_2) | instid1(VALU_DEP_3)
	s_and_b32 s1, s1, s4
	v_add3_u32 v5, v33, v5, v27
	v_cndmask_b32_e64 v27, 0, v22, s0
	s_and_b32 s0, s2, s3
	s_mov_b32 s2, exec_lo
	s_and_b32 s0, s5, s0
	v_lshlrev_b32_e32 v28, 2, v5
	s_and_b32 s0, s1, s0
	s_delay_alu instid0(SALU_CYCLE_1)
	s_and_b32 s0, vcc_lo, s0
.LBB9_20:                               ;   Parent Loop BB9_9 Depth=1
                                        ; =>  This Inner Loop Header: Depth=2
	v_readfirstlane_b32 s4, v0
	v_readfirstlane_b32 s5, v1
	;; [unrolled: 1-line block ×4, first 2 shown]
	s_delay_alu instid0(VALU_DEP_3) | instskip(NEXT) | instid1(VALU_DEP_2)
	v_cmp_eq_u64_e32 vcc_lo, s[4:5], v[0:1]
	v_cmp_eq_u64_e64 s1, s[6:7], v[16:17]
	s_delay_alu instid0(VALU_DEP_1) | instskip(NEXT) | instid1(SALU_CYCLE_1)
	s_and_b32 s1, vcc_lo, s1
	s_and_saveexec_b32 s1, s1
	buffer_load_b128 v[20:23], v28, s[4:7], 0 offen
                                        ; implicit-def: $vgpr28
	s_xor_b32 exec_lo, exec_lo, s1
	s_cbranch_execnz .LBB9_20
; %bb.21:                               ;   in Loop: Header=BB9_9 Depth=1
	s_mov_b32 exec_lo, s2
	s_clause 0x1
	flat_load_b32 v210, v[10:11] offset:32
	flat_load_b32 v34, v[10:11] offset:20
	s_waitcnt vmcnt(2)
	v_cndmask_b32_e64 v28, 0, v23, s0
	v_cndmask_b32_e64 v33, 0, v22, s0
	;; [unrolled: 1-line block ×3, first 2 shown]
	v_lshlrev_b32_e32 v36, 2, v209
	s_mov_b32 s3, exec_lo
	s_waitcnt vmcnt(1) lgkmcnt(1)
	v_cmp_gt_i32_e64 s1, v210, v38
	s_waitcnt vmcnt(0) lgkmcnt(0)
	v_cmp_gt_i32_e32 vcc_lo, v34, v180
	v_cndmask_b32_e64 v34, 0, v21, s0
	s_delay_alu instid0(VALU_DEP_3)
	s_and_b32 s0, vcc_lo, s1
.LBB9_22:                               ;   Parent Loop BB9_9 Depth=1
                                        ; =>  This Inner Loop Header: Depth=2
	v_readfirstlane_b32 s4, v2
	v_readfirstlane_b32 s5, v3
	;; [unrolled: 1-line block ×4, first 2 shown]
	s_delay_alu instid0(VALU_DEP_3) | instskip(NEXT) | instid1(VALU_DEP_2)
	v_cmp_eq_u64_e64 s1, s[4:5], v[2:3]
	v_cmp_eq_u64_e64 s2, s[6:7], v[29:30]
	s_delay_alu instid0(VALU_DEP_1) | instskip(NEXT) | instid1(SALU_CYCLE_1)
	s_and_b32 s1, s1, s2
	s_and_saveexec_b32 s1, s1
	buffer_load_b128 v[20:23], v36, s[4:7], 0 offen
                                        ; implicit-def: $vgpr36
	s_xor_b32 exec_lo, exec_lo, s1
	s_cbranch_execnz .LBB9_22
; %bb.23:                               ;   in Loop: Header=BB9_9 Depth=1
	s_mov_b32 exec_lo, s3
	v_lshlrev_b32_e32 v37, 2, v199
	s_waitcnt vmcnt(0)
	v_cndmask_b32_e64 v36, 0, v23, s0
	s_mov_b32 s2, exec_lo
	s_delay_alu instid0(VALU_DEP_2)
	v_add_nc_u32_e32 v208, v37, v38
	v_add_nc_u32_e32 v199, v37, v209
	v_cndmask_b32_e64 v37, 0, v22, s0
	v_cndmask_b32_e64 v209, 0, v21, s0
	;; [unrolled: 1-line block ×3, first 2 shown]
	v_cmp_gt_i32_e64 s1, v210, v208
	v_lshlrev_b32_e32 v210, 2, v199
	s_delay_alu instid0(VALU_DEP_2)
	s_and_b32 vcc_lo, vcc_lo, s1
.LBB9_24:                               ;   Parent Loop BB9_9 Depth=1
                                        ; =>  This Inner Loop Header: Depth=2
	v_readfirstlane_b32 s4, v2
	v_readfirstlane_b32 s5, v3
	;; [unrolled: 1-line block ×4, first 2 shown]
	s_delay_alu instid0(VALU_DEP_3) | instskip(NEXT) | instid1(VALU_DEP_2)
	v_cmp_eq_u64_e64 s0, s[4:5], v[2:3]
	v_cmp_eq_u64_e64 s1, s[6:7], v[29:30]
	s_delay_alu instid0(VALU_DEP_1) | instskip(NEXT) | instid1(SALU_CYCLE_1)
	s_and_b32 s0, s0, s1
	s_and_saveexec_b32 s0, s0
	buffer_load_b128 v[20:23], v210, s[4:7], 0 offen
                                        ; implicit-def: $vgpr210
	s_xor_b32 exec_lo, exec_lo, s0
	s_cbranch_execnz .LBB9_24
; %bb.25:                               ;   in Loop: Header=BB9_9 Depth=1
	s_mov_b32 exec_lo, s2
	s_waitcnt vmcnt(0) lgkmcnt(0)
	s_barrier
	ds_load_b128 v[210:213], v177 offset:8192
	ds_load_b128 v[224:227], v178 offset:24576
	;; [unrolled: 1-line block ×4, first 2 shown]
	s_add_i32 s11, s11, 32
	v_dual_cndmask_b32 v214, 0, v23 :: v_dual_cndmask_b32 v215, 0, v22
	s_waitcnt lgkmcnt(2)
	;;#ASMSTART
	
             v_fmac_f32 v167, v210, v224 
             
	;;#ASMEND
	;;#ASMSTART
	
             v_fmac_f32 v176, v210, v225 
             
	;;#ASMEND
	;; [unrolled: 5-line block ×16, first 2 shown]
	s_waitcnt lgkmcnt(1)
	;;#ASMSTART
	
             v_fmac_f32 v163, v210, v228 
             
	;;#ASMEND
	;;#ASMSTART
	
             v_fmac_f32 v164, v210, v229 
             
	;;#ASMEND
	;; [unrolled: 5-line block ×16, first 2 shown]
	ds_load_b128 v[210:213], v177 offset:8704
	s_waitcnt lgkmcnt(1)
	;;#ASMSTART
	
             v_fmac_f32 v131, v240, v224 
             
	;;#ASMEND
	;;#ASMSTART
	
             v_fmac_f32 v134, v240, v225 
             
	;;#ASMEND
	;;#ASMSTART
	
             v_fmac_f32 v133, v240, v226 
             
	;;#ASMEND
	;;#ASMSTART
	
             v_fmac_f32 v132, v240, v227 
             
	;;#ASMEND
	;;#ASMSTART
	
             v_fmac_f32 v67, v241, v224 
             
	;;#ASMEND
	;;#ASMSTART
	
             v_fmac_f32 v66, v241, v225 
             
	;;#ASMEND
	;;#ASMSTART
	
             v_fmac_f32 v65, v241, v226 
             
	;;#ASMEND
	;;#ASMSTART
	
             v_fmac_f32 v64, v241, v227 
             
	;;#ASMEND
	;;#ASMSTART
	
             v_fmac_f32 v103, v242, v224 
             
	;;#ASMEND
	;;#ASMSTART
	
             v_fmac_f32 v102, v242, v225 
             
	;;#ASMEND
	;;#ASMSTART
	
             v_fmac_f32 v101, v242, v226 
             
	;;#ASMEND
	;;#ASMSTART
	
             v_fmac_f32 v100, v242, v227 
             
	;;#ASMEND
	;;#ASMSTART
	
             v_fmac_f32 v119, v243, v224 
             
	;;#ASMEND
	;;#ASMSTART
	
             v_fmac_f32 v118, v243, v225 
             
	;;#ASMEND
	;;#ASMSTART
	
             v_fmac_f32 v116, v243, v226 
             
	;;#ASMEND
	;;#ASMSTART
	
             v_fmac_f32 v117, v243, v227 
             
	;;#ASMEND
	ds_load_b128 v[224:227], v178 offset:25088
	;;#ASMSTART
	
             v_fmac_f32 v50, v240, v228 
             
	;;#ASMEND
	;;#ASMSTART
	
             v_fmac_f32 v51, v240, v229 
             
	;;#ASMEND
	;;#ASMSTART
	
             v_fmac_f32 v48, v240, v230 
             
	;;#ASMEND
	;;#ASMSTART
	
             v_fmac_f32 v49, v240, v231 
             
	;;#ASMEND
	;;#ASMSTART
	
             v_fmac_f32 v98, v241, v228 
             
	;;#ASMEND
	;;#ASMSTART
	
             v_fmac_f32 v99, v241, v229 
             
	;;#ASMEND
	;;#ASMSTART
	
             v_fmac_f32 v96, v241, v230 
             
	;;#ASMEND
	;;#ASMSTART
	
             v_fmac_f32 v97, v241, v231 
             
	;;#ASMEND
	;;#ASMSTART
	
             v_fmac_f32 v114, v242, v228 
             
	;;#ASMEND
	;;#ASMSTART
	
             v_fmac_f32 v115, v242, v229 
             
	;;#ASMEND
	;;#ASMSTART
	
             v_fmac_f32 v112, v242, v230 
             
	;;#ASMEND
	;;#ASMSTART
	
             v_fmac_f32 v113, v242, v231 
             
	;;#ASMEND
	;;#ASMSTART
	
             v_fmac_f32 v129, v243, v228 
             
	;;#ASMEND
	;;#ASMSTART
	
             v_fmac_f32 v39, v243, v229 
             
	;;#ASMEND
	;;#ASMSTART
	
             v_fmac_f32 v128, v243, v230 
             
	;;#ASMEND
	;;#ASMSTART
	
             v_fmac_f32 v130, v243, v231 
             
	;;#ASMEND
	ds_load_b128 v[228:231], v178 offset:25344
	ds_load_b128 v[240:243], v177 offset:8960
	s_waitcnt lgkmcnt(2)
	;;#ASMSTART
	
             v_fmac_f32 v167, v210, v224 
             
	;;#ASMEND
	;;#ASMSTART
	
             v_fmac_f32 v176, v210, v225 
             
	;;#ASMEND
	;; [unrolled: 5-line block ×16, first 2 shown]
	s_waitcnt lgkmcnt(1)
	;;#ASMSTART
	
             v_fmac_f32 v163, v210, v228 
             
	;;#ASMEND
	;;#ASMSTART
	
             v_fmac_f32 v164, v210, v229 
             
	;;#ASMEND
	;; [unrolled: 5-line block ×16, first 2 shown]
	ds_load_b128 v[210:213], v177 offset:9216
	s_waitcnt lgkmcnt(1)
	;;#ASMSTART
	
             v_fmac_f32 v131, v240, v224 
             
	;;#ASMEND
	;;#ASMSTART
	
             v_fmac_f32 v134, v240, v225 
             
	;;#ASMEND
	;; [unrolled: 5-line block ×16, first 2 shown]
	ds_load_b128 v[224:227], v178 offset:25600
	;;#ASMSTART
	
             v_fmac_f32 v50, v240, v228 
             
	;;#ASMEND
	;;#ASMSTART
	
             v_fmac_f32 v51, v240, v229 
             
	;;#ASMEND
	;; [unrolled: 5-line block ×16, first 2 shown]
	ds_load_b128 v[228:231], v178 offset:25856
	ds_load_b128 v[240:243], v177 offset:9472
	s_waitcnt lgkmcnt(2)
	;;#ASMSTART
	
             v_fmac_f32 v167, v210, v224 
             
	;;#ASMEND
	;;#ASMSTART
	
             v_fmac_f32 v176, v210, v225 
             
	;;#ASMEND
	;;#ASMSTART
	
             v_fmac_f32 v165, v210, v226 
             
	;;#ASMEND
	;;#ASMSTART
	
             v_fmac_f32 v166, v210, v227 
             
	;;#ASMEND
	;;#ASMSTART
	
             v_fmac_f32 v160, v211, v224 
             
	;;#ASMEND
	;;#ASMSTART
	
             v_fmac_f32 v151, v211, v225 
             
	;;#ASMEND
	;;#ASMSTART
	
             v_fmac_f32 v150, v211, v226 
             
	;;#ASMEND
	;;#ASMSTART
	
             v_fmac_f32 v149, v211, v227 
             
	;;#ASMEND
	;;#ASMSTART
	
             v_fmac_f32 v55, v212, v224 
             
	;;#ASMEND
	;;#ASMSTART
	
             v_fmac_f32 v54, v212, v225 
             
	;;#ASMEND
	;;#ASMSTART
	
             v_fmac_f32 v53, v212, v226 
             
	;;#ASMEND
	;;#ASMSTART
	
             v_fmac_f32 v52, v212, v227 
             
	;;#ASMEND
	;;#ASMSTART
	
             v_fmac_f32 v146, v213, v224 
             
	;;#ASMEND
	;;#ASMSTART
	
             v_fmac_f32 v145, v213, v225 
             
	;;#ASMEND
	;;#ASMSTART
	
             v_fmac_f32 v144, v213, v226 
             
	;;#ASMEND
	;;#ASMSTART
	
             v_fmac_f32 v135, v213, v227 
             
	;;#ASMEND
	s_waitcnt lgkmcnt(1)
	;;#ASMSTART
	
             v_fmac_f32 v163, v210, v228 
             
	;;#ASMEND
	;;#ASMSTART
	
             v_fmac_f32 v164, v210, v229 
             
	;;#ASMEND
	;; [unrolled: 5-line block ×16, first 2 shown]
	ds_load_b128 v[210:213], v177 offset:9728
	s_waitcnt lgkmcnt(1)
	;;#ASMSTART
	
             v_fmac_f32 v131, v240, v224 
             
	;;#ASMEND
	;;#ASMSTART
	
             v_fmac_f32 v134, v240, v225 
             
	;;#ASMEND
	;;#ASMSTART
	
             v_fmac_f32 v133, v240, v226 
             
	;;#ASMEND
	;;#ASMSTART
	
             v_fmac_f32 v132, v240, v227 
             
	;;#ASMEND
	;;#ASMSTART
	
             v_fmac_f32 v67, v241, v224 
             
	;;#ASMEND
	;;#ASMSTART
	
             v_fmac_f32 v66, v241, v225 
             
	;;#ASMEND
	;;#ASMSTART
	
             v_fmac_f32 v65, v241, v226 
             
	;;#ASMEND
	;;#ASMSTART
	
             v_fmac_f32 v64, v241, v227 
             
	;;#ASMEND
	;;#ASMSTART
	
             v_fmac_f32 v103, v242, v224 
             
	;;#ASMEND
	;;#ASMSTART
	
             v_fmac_f32 v102, v242, v225 
             
	;;#ASMEND
	;;#ASMSTART
	
             v_fmac_f32 v101, v242, v226 
             
	;;#ASMEND
	;;#ASMSTART
	
             v_fmac_f32 v100, v242, v227 
             
	;;#ASMEND
	;;#ASMSTART
	
             v_fmac_f32 v119, v243, v224 
             
	;;#ASMEND
	;;#ASMSTART
	
             v_fmac_f32 v118, v243, v225 
             
	;;#ASMEND
	;;#ASMSTART
	
             v_fmac_f32 v116, v243, v226 
             
	;;#ASMEND
	;;#ASMSTART
	
             v_fmac_f32 v117, v243, v227 
             
	;;#ASMEND
	ds_load_b128 v[224:227], v178 offset:26112
	;;#ASMSTART
	
             v_fmac_f32 v50, v240, v228 
             
	;;#ASMEND
	;;#ASMSTART
	
             v_fmac_f32 v51, v240, v229 
             
	;;#ASMEND
	;; [unrolled: 5-line block ×16, first 2 shown]
	ds_load_b128 v[228:231], v178 offset:26368
	ds_load_b128 v[240:243], v177 offset:9984
	s_waitcnt lgkmcnt(2)
	;;#ASMSTART
	
             v_fmac_f32 v167, v210, v224 
             
	;;#ASMEND
	;;#ASMSTART
	
             v_fmac_f32 v176, v210, v225 
             
	;;#ASMEND
	;; [unrolled: 5-line block ×16, first 2 shown]
	s_waitcnt lgkmcnt(1)
	;;#ASMSTART
	
             v_fmac_f32 v163, v210, v228 
             
	;;#ASMEND
	;;#ASMSTART
	
             v_fmac_f32 v164, v210, v229 
             
	;;#ASMEND
	;; [unrolled: 5-line block ×16, first 2 shown]
	ds_load_b128 v[210:213], v177 offset:10240
	s_waitcnt lgkmcnt(1)
	;;#ASMSTART
	
             v_fmac_f32 v131, v240, v224 
             
	;;#ASMEND
	;;#ASMSTART
	
             v_fmac_f32 v134, v240, v225 
             
	;;#ASMEND
	;; [unrolled: 5-line block ×16, first 2 shown]
	ds_load_b128 v[224:227], v178 offset:26624
	;;#ASMSTART
	
             v_fmac_f32 v50, v240, v228 
             
	;;#ASMEND
	;;#ASMSTART
	
             v_fmac_f32 v51, v240, v229 
             
	;;#ASMEND
	;; [unrolled: 5-line block ×16, first 2 shown]
	ds_load_b128 v[228:231], v178 offset:26880
	ds_load_b128 v[240:243], v177 offset:10496
	s_waitcnt lgkmcnt(2)
	;;#ASMSTART
	
             v_fmac_f32 v167, v210, v224 
             
	;;#ASMEND
	;;#ASMSTART
	
             v_fmac_f32 v176, v210, v225 
             
	;;#ASMEND
	;; [unrolled: 5-line block ×16, first 2 shown]
	s_waitcnt lgkmcnt(1)
	;;#ASMSTART
	
             v_fmac_f32 v163, v210, v228 
             
	;;#ASMEND
	;;#ASMSTART
	
             v_fmac_f32 v164, v210, v229 
             
	;;#ASMEND
	;; [unrolled: 5-line block ×16, first 2 shown]
	ds_load_b128 v[210:213], v177 offset:10752
	s_waitcnt lgkmcnt(1)
	;;#ASMSTART
	
             v_fmac_f32 v131, v240, v224 
             
	;;#ASMEND
	;;#ASMSTART
	
             v_fmac_f32 v134, v240, v225 
             
	;;#ASMEND
	;;#ASMSTART
	
             v_fmac_f32 v133, v240, v226 
             
	;;#ASMEND
	;;#ASMSTART
	
             v_fmac_f32 v132, v240, v227 
             
	;;#ASMEND
	;;#ASMSTART
	
             v_fmac_f32 v67, v241, v224 
             
	;;#ASMEND
	;;#ASMSTART
	
             v_fmac_f32 v66, v241, v225 
             
	;;#ASMEND
	;;#ASMSTART
	
             v_fmac_f32 v65, v241, v226 
             
	;;#ASMEND
	;;#ASMSTART
	
             v_fmac_f32 v64, v241, v227 
             
	;;#ASMEND
	;;#ASMSTART
	
             v_fmac_f32 v103, v242, v224 
             
	;;#ASMEND
	;;#ASMSTART
	
             v_fmac_f32 v102, v242, v225 
             
	;;#ASMEND
	;;#ASMSTART
	
             v_fmac_f32 v101, v242, v226 
             
	;;#ASMEND
	;;#ASMSTART
	
             v_fmac_f32 v100, v242, v227 
             
	;;#ASMEND
	;;#ASMSTART
	
             v_fmac_f32 v119, v243, v224 
             
	;;#ASMEND
	;;#ASMSTART
	
             v_fmac_f32 v118, v243, v225 
             
	;;#ASMEND
	;;#ASMSTART
	
             v_fmac_f32 v116, v243, v226 
             
	;;#ASMEND
	;;#ASMSTART
	
             v_fmac_f32 v117, v243, v227 
             
	;;#ASMEND
	ds_load_b128 v[224:227], v178 offset:27136
	;;#ASMSTART
	
             v_fmac_f32 v50, v240, v228 
             
	;;#ASMEND
	;;#ASMSTART
	
             v_fmac_f32 v51, v240, v229 
             
	;;#ASMEND
	;; [unrolled: 5-line block ×16, first 2 shown]
	ds_load_b128 v[228:231], v178 offset:27392
	ds_load_b128 v[240:243], v177 offset:11008
	s_waitcnt lgkmcnt(2)
	;;#ASMSTART
	
             v_fmac_f32 v167, v210, v224 
             
	;;#ASMEND
	;;#ASMSTART
	
             v_fmac_f32 v176, v210, v225 
             
	;;#ASMEND
	;; [unrolled: 5-line block ×16, first 2 shown]
	s_waitcnt lgkmcnt(1)
	;;#ASMSTART
	
             v_fmac_f32 v163, v210, v228 
             
	;;#ASMEND
	;;#ASMSTART
	
             v_fmac_f32 v164, v210, v229 
             
	;;#ASMEND
	;; [unrolled: 5-line block ×16, first 2 shown]
	ds_load_b128 v[210:213], v177 offset:11264
	s_waitcnt lgkmcnt(1)
	;;#ASMSTART
	
             v_fmac_f32 v131, v240, v224 
             
	;;#ASMEND
	;;#ASMSTART
	
             v_fmac_f32 v134, v240, v225 
             
	;;#ASMEND
	;; [unrolled: 5-line block ×16, first 2 shown]
	ds_load_b128 v[224:227], v178 offset:27648
	;;#ASMSTART
	
             v_fmac_f32 v50, v240, v228 
             
	;;#ASMEND
	;;#ASMSTART
	
             v_fmac_f32 v51, v240, v229 
             
	;;#ASMEND
	;; [unrolled: 5-line block ×16, first 2 shown]
	ds_load_b128 v[228:231], v178 offset:27904
	ds_load_b128 v[240:243], v177 offset:11520
	s_waitcnt lgkmcnt(2)
	;;#ASMSTART
	
             v_fmac_f32 v167, v210, v224 
             
	;;#ASMEND
	;;#ASMSTART
	
             v_fmac_f32 v176, v210, v225 
             
	;;#ASMEND
	;;#ASMSTART
	
             v_fmac_f32 v165, v210, v226 
             
	;;#ASMEND
	;;#ASMSTART
	
             v_fmac_f32 v166, v210, v227 
             
	;;#ASMEND
	;;#ASMSTART
	
             v_fmac_f32 v160, v211, v224 
             
	;;#ASMEND
	;;#ASMSTART
	
             v_fmac_f32 v151, v211, v225 
             
	;;#ASMEND
	;;#ASMSTART
	
             v_fmac_f32 v150, v211, v226 
             
	;;#ASMEND
	;;#ASMSTART
	
             v_fmac_f32 v149, v211, v227 
             
	;;#ASMEND
	;;#ASMSTART
	
             v_fmac_f32 v55, v212, v224 
             
	;;#ASMEND
	;;#ASMSTART
	
             v_fmac_f32 v54, v212, v225 
             
	;;#ASMEND
	;;#ASMSTART
	
             v_fmac_f32 v53, v212, v226 
             
	;;#ASMEND
	;;#ASMSTART
	
             v_fmac_f32 v52, v212, v227 
             
	;;#ASMEND
	;;#ASMSTART
	
             v_fmac_f32 v146, v213, v224 
             
	;;#ASMEND
	;;#ASMSTART
	
             v_fmac_f32 v145, v213, v225 
             
	;;#ASMEND
	;;#ASMSTART
	
             v_fmac_f32 v144, v213, v226 
             
	;;#ASMEND
	;;#ASMSTART
	
             v_fmac_f32 v135, v213, v227 
             
	;;#ASMEND
	s_waitcnt lgkmcnt(1)
	;;#ASMSTART
	
             v_fmac_f32 v163, v210, v228 
             
	;;#ASMEND
	;;#ASMSTART
	
             v_fmac_f32 v164, v210, v229 
             
	;;#ASMEND
	;; [unrolled: 5-line block ×16, first 2 shown]
	ds_load_b128 v[210:213], v177 offset:11776
	s_waitcnt lgkmcnt(1)
	;;#ASMSTART
	
             v_fmac_f32 v131, v240, v224 
             
	;;#ASMEND
	;;#ASMSTART
	
             v_fmac_f32 v134, v240, v225 
             
	;;#ASMEND
	;; [unrolled: 5-line block ×16, first 2 shown]
	ds_load_b128 v[224:227], v178 offset:28160
	;;#ASMSTART
	
             v_fmac_f32 v50, v240, v228 
             
	;;#ASMEND
	;;#ASMSTART
	
             v_fmac_f32 v51, v240, v229 
             
	;;#ASMEND
	;; [unrolled: 5-line block ×16, first 2 shown]
	ds_load_b128 v[228:231], v178 offset:28416
	ds_load_b128 v[240:243], v177 offset:12032
	s_waitcnt lgkmcnt(2)
	;;#ASMSTART
	
             v_fmac_f32 v167, v210, v224 
             
	;;#ASMEND
	;;#ASMSTART
	
             v_fmac_f32 v176, v210, v225 
             
	;;#ASMEND
	;; [unrolled: 5-line block ×16, first 2 shown]
	s_waitcnt lgkmcnt(1)
	;;#ASMSTART
	
             v_fmac_f32 v163, v210, v228 
             
	;;#ASMEND
	;;#ASMSTART
	
             v_fmac_f32 v164, v210, v229 
             
	;;#ASMEND
	;; [unrolled: 5-line block ×16, first 2 shown]
	ds_load_b128 v[210:213], v177 offset:12288
	s_waitcnt lgkmcnt(1)
	;;#ASMSTART
	
             v_fmac_f32 v131, v240, v224 
             
	;;#ASMEND
	;;#ASMSTART
	
             v_fmac_f32 v134, v240, v225 
             
	;;#ASMEND
	;; [unrolled: 5-line block ×16, first 2 shown]
	ds_load_b128 v[224:227], v178 offset:28672
	;;#ASMSTART
	
             v_fmac_f32 v50, v240, v228 
             
	;;#ASMEND
	;;#ASMSTART
	
             v_fmac_f32 v51, v240, v229 
             
	;;#ASMEND
	;; [unrolled: 5-line block ×16, first 2 shown]
	ds_load_b128 v[228:231], v178 offset:28928
	ds_load_b128 v[240:243], v177 offset:12544
	s_waitcnt lgkmcnt(2)
	;;#ASMSTART
	
             v_fmac_f32 v167, v210, v224 
             
	;;#ASMEND
	;;#ASMSTART
	
             v_fmac_f32 v176, v210, v225 
             
	;;#ASMEND
	;; [unrolled: 5-line block ×16, first 2 shown]
	s_waitcnt lgkmcnt(1)
	;;#ASMSTART
	
             v_fmac_f32 v163, v210, v228 
             
	;;#ASMEND
	;;#ASMSTART
	
             v_fmac_f32 v164, v210, v229 
             
	;;#ASMEND
	;; [unrolled: 5-line block ×16, first 2 shown]
	ds_load_b128 v[210:213], v177 offset:12800
	s_waitcnt lgkmcnt(1)
	;;#ASMSTART
	
             v_fmac_f32 v131, v240, v224 
             
	;;#ASMEND
	;;#ASMSTART
	
             v_fmac_f32 v134, v240, v225 
             
	;;#ASMEND
	;; [unrolled: 5-line block ×16, first 2 shown]
	ds_load_b128 v[224:227], v178 offset:29184
	;;#ASMSTART
	
             v_fmac_f32 v50, v240, v228 
             
	;;#ASMEND
	;;#ASMSTART
	
             v_fmac_f32 v51, v240, v229 
             
	;;#ASMEND
	;; [unrolled: 5-line block ×16, first 2 shown]
	ds_load_b128 v[228:231], v178 offset:29440
	ds_load_b128 v[240:243], v177 offset:13056
	s_waitcnt lgkmcnt(2)
	;;#ASMSTART
	
             v_fmac_f32 v167, v210, v224 
             
	;;#ASMEND
	;;#ASMSTART
	
             v_fmac_f32 v176, v210, v225 
             
	;;#ASMEND
	;; [unrolled: 5-line block ×16, first 2 shown]
	s_waitcnt lgkmcnt(1)
	;;#ASMSTART
	
             v_fmac_f32 v163, v210, v228 
             
	;;#ASMEND
	;;#ASMSTART
	
             v_fmac_f32 v164, v210, v229 
             
	;;#ASMEND
	;; [unrolled: 5-line block ×16, first 2 shown]
	ds_load_b128 v[210:213], v177 offset:13312
	s_waitcnt lgkmcnt(1)
	;;#ASMSTART
	
             v_fmac_f32 v131, v240, v224 
             
	;;#ASMEND
	;;#ASMSTART
	
             v_fmac_f32 v134, v240, v225 
             
	;;#ASMEND
	;; [unrolled: 5-line block ×16, first 2 shown]
	ds_load_b128 v[224:227], v178 offset:29696
	;;#ASMSTART
	
             v_fmac_f32 v50, v240, v228 
             
	;;#ASMEND
	;;#ASMSTART
	
             v_fmac_f32 v51, v240, v229 
             
	;;#ASMEND
	;; [unrolled: 5-line block ×16, first 2 shown]
	ds_load_b128 v[228:231], v178 offset:29952
	ds_load_b128 v[240:243], v177 offset:13568
	s_waitcnt lgkmcnt(2)
	;;#ASMSTART
	
             v_fmac_f32 v167, v210, v224 
             
	;;#ASMEND
	;;#ASMSTART
	
             v_fmac_f32 v176, v210, v225 
             
	;;#ASMEND
	;; [unrolled: 5-line block ×16, first 2 shown]
	s_waitcnt lgkmcnt(1)
	;;#ASMSTART
	
             v_fmac_f32 v163, v210, v228 
             
	;;#ASMEND
	;;#ASMSTART
	
             v_fmac_f32 v164, v210, v229 
             
	;;#ASMEND
	;; [unrolled: 5-line block ×16, first 2 shown]
	ds_load_b128 v[210:213], v177 offset:13824
	s_waitcnt lgkmcnt(1)
	;;#ASMSTART
	
             v_fmac_f32 v131, v240, v224 
             
	;;#ASMEND
	;;#ASMSTART
	
             v_fmac_f32 v134, v240, v225 
             
	;;#ASMEND
	;; [unrolled: 5-line block ×16, first 2 shown]
	ds_load_b128 v[224:227], v178 offset:30208
	;;#ASMSTART
	
             v_fmac_f32 v50, v240, v228 
             
	;;#ASMEND
	;;#ASMSTART
	
             v_fmac_f32 v51, v240, v229 
             
	;;#ASMEND
	;;#ASMSTART
	
             v_fmac_f32 v48, v240, v230 
             
	;;#ASMEND
	;;#ASMSTART
	
             v_fmac_f32 v49, v240, v231 
             
	;;#ASMEND
	;;#ASMSTART
	
             v_fmac_f32 v98, v241, v228 
             
	;;#ASMEND
	;;#ASMSTART
	
             v_fmac_f32 v99, v241, v229 
             
	;;#ASMEND
	;;#ASMSTART
	
             v_fmac_f32 v96, v241, v230 
             
	;;#ASMEND
	;;#ASMSTART
	
             v_fmac_f32 v97, v241, v231 
             
	;;#ASMEND
	;;#ASMSTART
	
             v_fmac_f32 v114, v242, v228 
             
	;;#ASMEND
	;;#ASMSTART
	
             v_fmac_f32 v115, v242, v229 
             
	;;#ASMEND
	;;#ASMSTART
	
             v_fmac_f32 v112, v242, v230 
             
	;;#ASMEND
	;;#ASMSTART
	
             v_fmac_f32 v113, v242, v231 
             
	;;#ASMEND
	;;#ASMSTART
	
             v_fmac_f32 v129, v243, v228 
             
	;;#ASMEND
	;;#ASMSTART
	
             v_fmac_f32 v39, v243, v229 
             
	;;#ASMEND
	;;#ASMSTART
	
             v_fmac_f32 v128, v243, v230 
             
	;;#ASMEND
	;;#ASMSTART
	
             v_fmac_f32 v130, v243, v231 
             
	;;#ASMEND
	ds_load_b128 v[228:231], v178 offset:30464
	ds_load_b128 v[240:243], v177 offset:14080
	s_waitcnt lgkmcnt(2)
	;;#ASMSTART
	
             v_fmac_f32 v167, v210, v224 
             
	;;#ASMEND
	;;#ASMSTART
	
             v_fmac_f32 v176, v210, v225 
             
	;;#ASMEND
	;; [unrolled: 5-line block ×16, first 2 shown]
	s_waitcnt lgkmcnt(1)
	;;#ASMSTART
	
             v_fmac_f32 v163, v210, v228 
             
	;;#ASMEND
	;;#ASMSTART
	
             v_fmac_f32 v164, v210, v229 
             
	;;#ASMEND
	;; [unrolled: 5-line block ×16, first 2 shown]
	ds_load_b128 v[210:213], v177 offset:14336
	s_waitcnt lgkmcnt(1)
	;;#ASMSTART
	
             v_fmac_f32 v131, v240, v224 
             
	;;#ASMEND
	;;#ASMSTART
	
             v_fmac_f32 v134, v240, v225 
             
	;;#ASMEND
	;; [unrolled: 5-line block ×16, first 2 shown]
	ds_load_b128 v[224:227], v178 offset:30720
	;;#ASMSTART
	
             v_fmac_f32 v50, v240, v228 
             
	;;#ASMEND
	;;#ASMSTART
	
             v_fmac_f32 v51, v240, v229 
             
	;;#ASMEND
	;; [unrolled: 5-line block ×16, first 2 shown]
	ds_load_b128 v[228:231], v178 offset:30976
	ds_load_b128 v[240:243], v177 offset:14592
	s_waitcnt lgkmcnt(2)
	;;#ASMSTART
	
             v_fmac_f32 v167, v210, v224 
             
	;;#ASMEND
	;;#ASMSTART
	
             v_fmac_f32 v176, v210, v225 
             
	;;#ASMEND
	;; [unrolled: 5-line block ×16, first 2 shown]
	s_waitcnt lgkmcnt(1)
	;;#ASMSTART
	
             v_fmac_f32 v163, v210, v228 
             
	;;#ASMEND
	;;#ASMSTART
	
             v_fmac_f32 v164, v210, v229 
             
	;;#ASMEND
	;; [unrolled: 5-line block ×16, first 2 shown]
	ds_load_b128 v[210:213], v177 offset:14848
	s_waitcnt lgkmcnt(1)
	;;#ASMSTART
	
             v_fmac_f32 v131, v240, v224 
             
	;;#ASMEND
	;;#ASMSTART
	
             v_fmac_f32 v134, v240, v225 
             
	;;#ASMEND
	;; [unrolled: 5-line block ×16, first 2 shown]
	ds_load_b128 v[224:227], v178 offset:31232
	;;#ASMSTART
	
             v_fmac_f32 v50, v240, v228 
             
	;;#ASMEND
	;;#ASMSTART
	
             v_fmac_f32 v51, v240, v229 
             
	;;#ASMEND
	;; [unrolled: 5-line block ×16, first 2 shown]
	ds_load_b128 v[228:231], v178 offset:31488
	ds_load_b128 v[240:243], v177 offset:15104
	s_waitcnt lgkmcnt(2)
	;;#ASMSTART
	
             v_fmac_f32 v167, v210, v224 
             
	;;#ASMEND
	;;#ASMSTART
	
             v_fmac_f32 v176, v210, v225 
             
	;;#ASMEND
	;;#ASMSTART
	
             v_fmac_f32 v165, v210, v226 
             
	;;#ASMEND
	;;#ASMSTART
	
             v_fmac_f32 v166, v210, v227 
             
	;;#ASMEND
	;;#ASMSTART
	
             v_fmac_f32 v160, v211, v224 
             
	;;#ASMEND
	;;#ASMSTART
	
             v_fmac_f32 v151, v211, v225 
             
	;;#ASMEND
	;;#ASMSTART
	
             v_fmac_f32 v150, v211, v226 
             
	;;#ASMEND
	;;#ASMSTART
	
             v_fmac_f32 v149, v211, v227 
             
	;;#ASMEND
	;;#ASMSTART
	
             v_fmac_f32 v55, v212, v224 
             
	;;#ASMEND
	;;#ASMSTART
	
             v_fmac_f32 v54, v212, v225 
             
	;;#ASMEND
	;;#ASMSTART
	
             v_fmac_f32 v53, v212, v226 
             
	;;#ASMEND
	;;#ASMSTART
	
             v_fmac_f32 v52, v212, v227 
             
	;;#ASMEND
	;;#ASMSTART
	
             v_fmac_f32 v146, v213, v224 
             
	;;#ASMEND
	;;#ASMSTART
	
             v_fmac_f32 v145, v213, v225 
             
	;;#ASMEND
	;;#ASMSTART
	
             v_fmac_f32 v144, v213, v226 
             
	;;#ASMEND
	;;#ASMSTART
	
             v_fmac_f32 v135, v213, v227 
             
	;;#ASMEND
	s_waitcnt lgkmcnt(1)
	;;#ASMSTART
	
             v_fmac_f32 v163, v210, v228 
             
	;;#ASMEND
	;;#ASMSTART
	
             v_fmac_f32 v164, v210, v229 
             
	;;#ASMEND
	;; [unrolled: 5-line block ×16, first 2 shown]
	ds_load_b128 v[210:213], v177 offset:15360
	s_waitcnt lgkmcnt(1)
	;;#ASMSTART
	
             v_fmac_f32 v131, v240, v224 
             
	;;#ASMEND
	;;#ASMSTART
	
             v_fmac_f32 v134, v240, v225 
             
	;;#ASMEND
	;; [unrolled: 5-line block ×16, first 2 shown]
	ds_load_b128 v[224:227], v178 offset:31744
	;;#ASMSTART
	
             v_fmac_f32 v50, v240, v228 
             
	;;#ASMEND
	;;#ASMSTART
	
             v_fmac_f32 v51, v240, v229 
             
	;;#ASMEND
	;; [unrolled: 5-line block ×16, first 2 shown]
	ds_load_b128 v[228:231], v178 offset:32000
	ds_load_b128 v[240:243], v177 offset:15616
	s_waitcnt lgkmcnt(2)
	;;#ASMSTART
	
             v_fmac_f32 v167, v210, v224 
             
	;;#ASMEND
	;;#ASMSTART
	
             v_fmac_f32 v176, v210, v225 
             
	;;#ASMEND
	;; [unrolled: 5-line block ×16, first 2 shown]
	s_waitcnt lgkmcnt(1)
	;;#ASMSTART
	
             v_fmac_f32 v163, v210, v228 
             
	;;#ASMEND
	;;#ASMSTART
	
             v_fmac_f32 v164, v210, v229 
             
	;;#ASMEND
	;; [unrolled: 5-line block ×16, first 2 shown]
	ds_load_b128 v[210:213], v177 offset:15872
	s_waitcnt lgkmcnt(1)
	;;#ASMSTART
	
             v_fmac_f32 v131, v240, v224 
             
	;;#ASMEND
	;;#ASMSTART
	
             v_fmac_f32 v134, v240, v225 
             
	;;#ASMEND
	;; [unrolled: 5-line block ×16, first 2 shown]
	ds_load_b128 v[224:227], v178 offset:32256
	;;#ASMSTART
	
             v_fmac_f32 v50, v240, v228 
             
	;;#ASMEND
	;;#ASMSTART
	
             v_fmac_f32 v51, v240, v229 
             
	;;#ASMEND
	;;#ASMSTART
	
             v_fmac_f32 v48, v240, v230 
             
	;;#ASMEND
	;;#ASMSTART
	
             v_fmac_f32 v49, v240, v231 
             
	;;#ASMEND
	;;#ASMSTART
	
             v_fmac_f32 v98, v241, v228 
             
	;;#ASMEND
	;;#ASMSTART
	
             v_fmac_f32 v99, v241, v229 
             
	;;#ASMEND
	;;#ASMSTART
	
             v_fmac_f32 v96, v241, v230 
             
	;;#ASMEND
	;;#ASMSTART
	
             v_fmac_f32 v97, v241, v231 
             
	;;#ASMEND
	v_dual_cndmask_b32 v240, 0, v21 :: v_dual_cndmask_b32 v241, 0, v20
	v_cmp_ge_i32_e32 vcc_lo, s11, v193
	;;#ASMSTART
	
             v_fmac_f32 v114, v242, v228 
             
	;;#ASMEND
	;;#ASMSTART
	
             v_fmac_f32 v115, v242, v229 
             
	;;#ASMEND
	;; [unrolled: 5-line block ×4, first 2 shown]
	s_or_b32 s10, vcc_lo, s10
	;;#ASMSTART
	
             v_fmac_f32 v129, v243, v228 
             
	;;#ASMEND
	;;#ASMSTART
	
             v_fmac_f32 v39, v243, v229 
             
	;;#ASMEND
	;; [unrolled: 5-line block ×4, first 2 shown]
	ds_load_b128 v[228:231], v178 offset:32512
	ds_load_b128 v[20:23], v177 offset:16128
	s_waitcnt lgkmcnt(2)
	;;#ASMSTART
	
             v_fmac_f32 v167, v210, v224 
             
	;;#ASMEND
	;;#ASMSTART
	
             v_fmac_f32 v176, v210, v225 
             
	;;#ASMEND
	;; [unrolled: 5-line block ×16, first 2 shown]
	s_waitcnt lgkmcnt(1)
	;;#ASMSTART
	
             v_fmac_f32 v163, v210, v228 
             
	;;#ASMEND
	;;#ASMSTART
	
             v_fmac_f32 v164, v210, v229 
             
	;;#ASMEND
	;; [unrolled: 5-line block ×16, first 2 shown]
	s_waitcnt lgkmcnt(0)
	;;#ASMSTART
	
             v_fmac_f32 v131, v20, v224 
             
	;;#ASMEND
	;;#ASMSTART
	
             v_fmac_f32 v134, v20, v225 
             
	;;#ASMEND
	;; [unrolled: 5-line block ×32, first 2 shown]
	ds_store_2addr_stride64_b32 v181, v27, v26 offset1:2
	ds_store_2addr_stride64_b32 v181, v32, v31 offset0:4 offset1:6
	ds_store_2addr_stride64_b32 v181, v35, v34 offset0:8 offset1:10
	;; [unrolled: 1-line block ×6, first 2 shown]
	ds_store_b32 v181, v38 offset:16384
	ds_store_b32 v182, v214 offset:3584
	s_and_not1_b32 exec_lo, exec_lo, s10
	s_cbranch_execnz .LBB9_9
; %bb.26:
	s_or_b32 exec_lo, exec_lo, s10
	s_waitcnt lgkmcnt(0)
	s_barrier
	buffer_gl0_inv
	ds_load_b128 v[0:3], v177
	ds_load_b128 v[8:11], v178 offset:16384
	ds_load_b128 v[20:23], v178 offset:16640
	;; [unrolled: 1-line block ×3, first 2 shown]
	v_lshl_add_u32 v38, s9, 7, v80
	s_waitcnt lgkmcnt(2)
	;;#ASMSTART
	
             v_fmac_f32 v167, v0, v8 
             
	;;#ASMEND
	;;#ASMSTART
	
             v_fmac_f32 v176, v0, v9 
             
	;;#ASMEND
	;; [unrolled: 5-line block ×16, first 2 shown]
	s_waitcnt lgkmcnt(1)
	;;#ASMSTART
	
             v_fmac_f32 v163, v0, v20 
             
	;;#ASMEND
	;;#ASMSTART
	
             v_fmac_f32 v164, v0, v21 
             
	;;#ASMEND
	;; [unrolled: 5-line block ×16, first 2 shown]
	ds_load_b128 v[0:3], v177 offset:512
	s_waitcnt lgkmcnt(1)
	;;#ASMSTART
	
             v_fmac_f32 v131, v24, v8 
             
	;;#ASMEND
	;;#ASMSTART
	
             v_fmac_f32 v134, v24, v9 
             
	;;#ASMEND
	;; [unrolled: 5-line block ×16, first 2 shown]
	ds_load_b128 v[8:11], v178 offset:16896
	;;#ASMSTART
	
             v_fmac_f32 v50, v24, v20 
             
	;;#ASMEND
	;;#ASMSTART
	
             v_fmac_f32 v51, v24, v21 
             
	;;#ASMEND
	;; [unrolled: 5-line block ×16, first 2 shown]
	ds_load_b128 v[20:23], v178 offset:17152
	ds_load_b128 v[24:27], v177 offset:768
	s_waitcnt lgkmcnt(2)
	;;#ASMSTART
	
             v_fmac_f32 v167, v0, v8 
             
	;;#ASMEND
	;;#ASMSTART
	
             v_fmac_f32 v176, v0, v9 
             
	;;#ASMEND
	;; [unrolled: 5-line block ×16, first 2 shown]
	s_waitcnt lgkmcnt(1)
	;;#ASMSTART
	
             v_fmac_f32 v163, v0, v20 
             
	;;#ASMEND
	;;#ASMSTART
	
             v_fmac_f32 v164, v0, v21 
             
	;;#ASMEND
	;; [unrolled: 5-line block ×16, first 2 shown]
	ds_load_b128 v[0:3], v177 offset:1024
	s_waitcnt lgkmcnt(1)
	;;#ASMSTART
	
             v_fmac_f32 v131, v24, v8 
             
	;;#ASMEND
	;;#ASMSTART
	
             v_fmac_f32 v134, v24, v9 
             
	;;#ASMEND
	;; [unrolled: 5-line block ×16, first 2 shown]
	ds_load_b128 v[8:11], v178 offset:17408
	;;#ASMSTART
	
             v_fmac_f32 v50, v24, v20 
             
	;;#ASMEND
	;;#ASMSTART
	
             v_fmac_f32 v51, v24, v21 
             
	;;#ASMEND
	;; [unrolled: 5-line block ×16, first 2 shown]
	ds_load_b128 v[20:23], v178 offset:17664
	ds_load_b128 v[24:27], v177 offset:1280
	s_waitcnt lgkmcnt(2)
	;;#ASMSTART
	
             v_fmac_f32 v167, v0, v8 
             
	;;#ASMEND
	;;#ASMSTART
	
             v_fmac_f32 v176, v0, v9 
             
	;;#ASMEND
	;;#ASMSTART
	
             v_fmac_f32 v165, v0, v10 
             
	;;#ASMEND
	;;#ASMSTART
	
             v_fmac_f32 v166, v0, v11 
             
	;;#ASMEND
	;;#ASMSTART
	
             v_fmac_f32 v160, v1, v8 
             
	;;#ASMEND
	;;#ASMSTART
	
             v_fmac_f32 v151, v1, v9 
             
	;;#ASMEND
	;;#ASMSTART
	
             v_fmac_f32 v150, v1, v10 
             
	;;#ASMEND
	;;#ASMSTART
	
             v_fmac_f32 v149, v1, v11 
             
	;;#ASMEND
	;;#ASMSTART
	
             v_fmac_f32 v55, v2, v8 
             
	;;#ASMEND
	;;#ASMSTART
	
             v_fmac_f32 v54, v2, v9 
             
	;;#ASMEND
	;;#ASMSTART
	
             v_fmac_f32 v53, v2, v10 
             
	;;#ASMEND
	;;#ASMSTART
	
             v_fmac_f32 v52, v2, v11 
             
	;;#ASMEND
	;;#ASMSTART
	
             v_fmac_f32 v146, v3, v8 
             
	;;#ASMEND
	;;#ASMSTART
	
             v_fmac_f32 v145, v3, v9 
             
	;;#ASMEND
	;;#ASMSTART
	
             v_fmac_f32 v144, v3, v10 
             
	;;#ASMEND
	;;#ASMSTART
	
             v_fmac_f32 v135, v3, v11 
             
	;;#ASMEND
	s_waitcnt lgkmcnt(1)
	;;#ASMSTART
	
             v_fmac_f32 v163, v0, v20 
             
	;;#ASMEND
	;;#ASMSTART
	
             v_fmac_f32 v164, v0, v21 
             
	;;#ASMEND
	;; [unrolled: 5-line block ×16, first 2 shown]
	ds_load_b128 v[0:3], v177 offset:1536
	s_waitcnt lgkmcnt(1)
	;;#ASMSTART
	
             v_fmac_f32 v131, v24, v8 
             
	;;#ASMEND
	;;#ASMSTART
	
             v_fmac_f32 v134, v24, v9 
             
	;;#ASMEND
	;; [unrolled: 5-line block ×16, first 2 shown]
	ds_load_b128 v[8:11], v178 offset:17920
	;;#ASMSTART
	
             v_fmac_f32 v50, v24, v20 
             
	;;#ASMEND
	;;#ASMSTART
	
             v_fmac_f32 v51, v24, v21 
             
	;;#ASMEND
	;; [unrolled: 5-line block ×16, first 2 shown]
	ds_load_b128 v[20:23], v178 offset:18176
	ds_load_b128 v[24:27], v177 offset:1792
	s_waitcnt lgkmcnt(2)
	;;#ASMSTART
	
             v_fmac_f32 v167, v0, v8 
             
	;;#ASMEND
	;;#ASMSTART
	
             v_fmac_f32 v176, v0, v9 
             
	;;#ASMEND
	;; [unrolled: 5-line block ×16, first 2 shown]
	s_waitcnt lgkmcnt(1)
	;;#ASMSTART
	
             v_fmac_f32 v163, v0, v20 
             
	;;#ASMEND
	;;#ASMSTART
	
             v_fmac_f32 v164, v0, v21 
             
	;;#ASMEND
	;; [unrolled: 5-line block ×16, first 2 shown]
	ds_load_b128 v[0:3], v177 offset:2048
	s_waitcnt lgkmcnt(1)
	;;#ASMSTART
	
             v_fmac_f32 v131, v24, v8 
             
	;;#ASMEND
	;;#ASMSTART
	
             v_fmac_f32 v134, v24, v9 
             
	;;#ASMEND
	;; [unrolled: 5-line block ×16, first 2 shown]
	ds_load_b128 v[8:11], v178 offset:18432
	;;#ASMSTART
	
             v_fmac_f32 v50, v24, v20 
             
	;;#ASMEND
	;;#ASMSTART
	
             v_fmac_f32 v51, v24, v21 
             
	;;#ASMEND
	;; [unrolled: 5-line block ×16, first 2 shown]
	ds_load_b128 v[20:23], v178 offset:18688
	ds_load_b128 v[24:27], v177 offset:2304
	s_waitcnt lgkmcnt(2)
	;;#ASMSTART
	
             v_fmac_f32 v167, v0, v8 
             
	;;#ASMEND
	;;#ASMSTART
	
             v_fmac_f32 v176, v0, v9 
             
	;;#ASMEND
	;; [unrolled: 5-line block ×16, first 2 shown]
	s_waitcnt lgkmcnt(1)
	;;#ASMSTART
	
             v_fmac_f32 v163, v0, v20 
             
	;;#ASMEND
	;;#ASMSTART
	
             v_fmac_f32 v164, v0, v21 
             
	;;#ASMEND
	;; [unrolled: 5-line block ×16, first 2 shown]
	ds_load_b128 v[0:3], v177 offset:2560
	s_waitcnt lgkmcnt(1)
	;;#ASMSTART
	
             v_fmac_f32 v131, v24, v8 
             
	;;#ASMEND
	;;#ASMSTART
	
             v_fmac_f32 v134, v24, v9 
             
	;;#ASMEND
	;; [unrolled: 5-line block ×16, first 2 shown]
	ds_load_b128 v[8:11], v178 offset:18944
	;;#ASMSTART
	
             v_fmac_f32 v50, v24, v20 
             
	;;#ASMEND
	;;#ASMSTART
	
             v_fmac_f32 v51, v24, v21 
             
	;;#ASMEND
	;; [unrolled: 5-line block ×16, first 2 shown]
	ds_load_b128 v[20:23], v178 offset:19200
	ds_load_b128 v[24:27], v177 offset:2816
	s_waitcnt lgkmcnt(2)
	;;#ASMSTART
	
             v_fmac_f32 v167, v0, v8 
             
	;;#ASMEND
	;;#ASMSTART
	
             v_fmac_f32 v176, v0, v9 
             
	;;#ASMEND
	;; [unrolled: 5-line block ×16, first 2 shown]
	s_waitcnt lgkmcnt(1)
	;;#ASMSTART
	
             v_fmac_f32 v163, v0, v20 
             
	;;#ASMEND
	;;#ASMSTART
	
             v_fmac_f32 v164, v0, v21 
             
	;;#ASMEND
	;; [unrolled: 5-line block ×16, first 2 shown]
	ds_load_b128 v[0:3], v177 offset:3072
	s_waitcnt lgkmcnt(1)
	;;#ASMSTART
	
             v_fmac_f32 v131, v24, v8 
             
	;;#ASMEND
	;;#ASMSTART
	
             v_fmac_f32 v134, v24, v9 
             
	;;#ASMEND
	;; [unrolled: 5-line block ×16, first 2 shown]
	ds_load_b128 v[8:11], v178 offset:19456
	;;#ASMSTART
	
             v_fmac_f32 v50, v24, v20 
             
	;;#ASMEND
	;;#ASMSTART
	
             v_fmac_f32 v51, v24, v21 
             
	;;#ASMEND
	;;#ASMSTART
	
             v_fmac_f32 v48, v24, v22 
             
	;;#ASMEND
	;;#ASMSTART
	
             v_fmac_f32 v49, v24, v23 
             
	;;#ASMEND
	;;#ASMSTART
	
             v_fmac_f32 v98, v25, v20 
             
	;;#ASMEND
	;;#ASMSTART
	
             v_fmac_f32 v99, v25, v21 
             
	;;#ASMEND
	;;#ASMSTART
	
             v_fmac_f32 v96, v25, v22 
             
	;;#ASMEND
	;;#ASMSTART
	
             v_fmac_f32 v97, v25, v23 
             
	;;#ASMEND
	;;#ASMSTART
	
             v_fmac_f32 v114, v26, v20 
             
	;;#ASMEND
	;;#ASMSTART
	
             v_fmac_f32 v115, v26, v21 
             
	;;#ASMEND
	;;#ASMSTART
	
             v_fmac_f32 v112, v26, v22 
             
	;;#ASMEND
	;;#ASMSTART
	
             v_fmac_f32 v113, v26, v23 
             
	;;#ASMEND
	;;#ASMSTART
	
             v_fmac_f32 v129, v27, v20 
             
	;;#ASMEND
	;;#ASMSTART
	
             v_fmac_f32 v39, v27, v21 
             
	;;#ASMEND
	;;#ASMSTART
	
             v_fmac_f32 v128, v27, v22 
             
	;;#ASMEND
	;;#ASMSTART
	
             v_fmac_f32 v130, v27, v23 
             
	;;#ASMEND
	ds_load_b128 v[20:23], v178 offset:19712
	ds_load_b128 v[24:27], v177 offset:3328
	s_waitcnt lgkmcnt(2)
	;;#ASMSTART
	
             v_fmac_f32 v167, v0, v8 
             
	;;#ASMEND
	;;#ASMSTART
	
             v_fmac_f32 v176, v0, v9 
             
	;;#ASMEND
	;;#ASMSTART
	
             v_fmac_f32 v165, v0, v10 
             
	;;#ASMEND
	;;#ASMSTART
	
             v_fmac_f32 v166, v0, v11 
             
	;;#ASMEND
	;;#ASMSTART
	
             v_fmac_f32 v160, v1, v8 
             
	;;#ASMEND
	;;#ASMSTART
	
             v_fmac_f32 v151, v1, v9 
             
	;;#ASMEND
	;;#ASMSTART
	
             v_fmac_f32 v150, v1, v10 
             
	;;#ASMEND
	;;#ASMSTART
	
             v_fmac_f32 v149, v1, v11 
             
	;;#ASMEND
	;;#ASMSTART
	
             v_fmac_f32 v55, v2, v8 
             
	;;#ASMEND
	;;#ASMSTART
	
             v_fmac_f32 v54, v2, v9 
             
	;;#ASMEND
	;;#ASMSTART
	
             v_fmac_f32 v53, v2, v10 
             
	;;#ASMEND
	;;#ASMSTART
	
             v_fmac_f32 v52, v2, v11 
             
	;;#ASMEND
	;;#ASMSTART
	
             v_fmac_f32 v146, v3, v8 
             
	;;#ASMEND
	;;#ASMSTART
	
             v_fmac_f32 v145, v3, v9 
             
	;;#ASMEND
	;;#ASMSTART
	
             v_fmac_f32 v144, v3, v10 
             
	;;#ASMEND
	;;#ASMSTART
	
             v_fmac_f32 v135, v3, v11 
             
	;;#ASMEND
	s_waitcnt lgkmcnt(1)
	;;#ASMSTART
	
             v_fmac_f32 v163, v0, v20 
             
	;;#ASMEND
	;;#ASMSTART
	
             v_fmac_f32 v164, v0, v21 
             
	;;#ASMEND
	;; [unrolled: 5-line block ×16, first 2 shown]
	ds_load_b128 v[0:3], v177 offset:3584
	s_waitcnt lgkmcnt(1)
	;;#ASMSTART
	
             v_fmac_f32 v131, v24, v8 
             
	;;#ASMEND
	;;#ASMSTART
	
             v_fmac_f32 v134, v24, v9 
             
	;;#ASMEND
	;; [unrolled: 5-line block ×16, first 2 shown]
	ds_load_b128 v[8:11], v178 offset:19968
	;;#ASMSTART
	
             v_fmac_f32 v50, v24, v20 
             
	;;#ASMEND
	;;#ASMSTART
	
             v_fmac_f32 v51, v24, v21 
             
	;;#ASMEND
	;; [unrolled: 5-line block ×16, first 2 shown]
	ds_load_b128 v[20:23], v178 offset:20224
	ds_load_b128 v[24:27], v177 offset:3840
	s_waitcnt lgkmcnt(2)
	;;#ASMSTART
	
             v_fmac_f32 v167, v0, v8 
             
	;;#ASMEND
	;;#ASMSTART
	
             v_fmac_f32 v176, v0, v9 
             
	;;#ASMEND
	;; [unrolled: 5-line block ×16, first 2 shown]
	s_waitcnt lgkmcnt(1)
	;;#ASMSTART
	
             v_fmac_f32 v163, v0, v20 
             
	;;#ASMEND
	;;#ASMSTART
	
             v_fmac_f32 v164, v0, v21 
             
	;;#ASMEND
	;;#ASMSTART
	
             v_fmac_f32 v161, v0, v22 
             
	;;#ASMEND
	;;#ASMSTART
	
             v_fmac_f32 v162, v0, v23 
             
	;;#ASMEND
	;;#ASMSTART
	
             v_fmac_f32 v147, v1, v20 
             
	;;#ASMEND
	;;#ASMSTART
	
             v_fmac_f32 v148, v1, v21 
             
	;;#ASMEND
	;;#ASMSTART
	
             v_fmac_f32 v82, v1, v22 
             
	;;#ASMEND
	;;#ASMSTART
	
             v_fmac_f32 v83, v1, v23 
             
	;;#ASMEND
	;;#ASMSTART
	
             v_fmac_f32 v70, v2, v20 
             
	;;#ASMEND
	;;#ASMSTART
	
             v_fmac_f32 v71, v2, v21 
             
	;;#ASMEND
	;;#ASMSTART
	
             v_fmac_f32 v68, v2, v22 
             
	;;#ASMEND
	;;#ASMSTART
	
             v_fmac_f32 v69, v2, v23 
             
	;;#ASMEND
	;;#ASMSTART
	
             v_fmac_f32 v87, v3, v20 
             
	;;#ASMEND
	;;#ASMSTART
	
             v_fmac_f32 v86, v3, v21 
             
	;;#ASMEND
	;;#ASMSTART
	
             v_fmac_f32 v84, v3, v22 
             
	;;#ASMEND
	;;#ASMSTART
	
             v_fmac_f32 v85, v3, v23 
             
	;;#ASMEND
	ds_load_b128 v[0:3], v177 offset:4096
	s_waitcnt lgkmcnt(1)
	;;#ASMSTART
	
             v_fmac_f32 v131, v24, v8 
             
	;;#ASMEND
	;;#ASMSTART
	
             v_fmac_f32 v134, v24, v9 
             
	;;#ASMEND
	;; [unrolled: 5-line block ×16, first 2 shown]
	ds_load_b128 v[8:11], v178 offset:20480
	;;#ASMSTART
	
             v_fmac_f32 v50, v24, v20 
             
	;;#ASMEND
	;;#ASMSTART
	
             v_fmac_f32 v51, v24, v21 
             
	;;#ASMEND
	;; [unrolled: 5-line block ×16, first 2 shown]
	ds_load_b128 v[20:23], v178 offset:20736
	ds_load_b128 v[24:27], v177 offset:4352
	s_waitcnt lgkmcnt(2)
	;;#ASMSTART
	
             v_fmac_f32 v167, v0, v8 
             
	;;#ASMEND
	;;#ASMSTART
	
             v_fmac_f32 v176, v0, v9 
             
	;;#ASMEND
	;; [unrolled: 5-line block ×16, first 2 shown]
	s_waitcnt lgkmcnt(1)
	;;#ASMSTART
	
             v_fmac_f32 v163, v0, v20 
             
	;;#ASMEND
	;;#ASMSTART
	
             v_fmac_f32 v164, v0, v21 
             
	;;#ASMEND
	;;#ASMSTART
	
             v_fmac_f32 v161, v0, v22 
             
	;;#ASMEND
	;;#ASMSTART
	
             v_fmac_f32 v162, v0, v23 
             
	;;#ASMEND
	;;#ASMSTART
	
             v_fmac_f32 v147, v1, v20 
             
	;;#ASMEND
	;;#ASMSTART
	
             v_fmac_f32 v148, v1, v21 
             
	;;#ASMEND
	;;#ASMSTART
	
             v_fmac_f32 v82, v1, v22 
             
	;;#ASMEND
	;;#ASMSTART
	
             v_fmac_f32 v83, v1, v23 
             
	;;#ASMEND
	;;#ASMSTART
	
             v_fmac_f32 v70, v2, v20 
             
	;;#ASMEND
	;;#ASMSTART
	
             v_fmac_f32 v71, v2, v21 
             
	;;#ASMEND
	;;#ASMSTART
	
             v_fmac_f32 v68, v2, v22 
             
	;;#ASMEND
	;;#ASMSTART
	
             v_fmac_f32 v69, v2, v23 
             
	;;#ASMEND
	;;#ASMSTART
	
             v_fmac_f32 v87, v3, v20 
             
	;;#ASMEND
	;;#ASMSTART
	
             v_fmac_f32 v86, v3, v21 
             
	;;#ASMEND
	;;#ASMSTART
	
             v_fmac_f32 v84, v3, v22 
             
	;;#ASMEND
	;;#ASMSTART
	
             v_fmac_f32 v85, v3, v23 
             
	;;#ASMEND
	ds_load_b128 v[0:3], v177 offset:4608
	s_waitcnt lgkmcnt(1)
	;;#ASMSTART
	
             v_fmac_f32 v131, v24, v8 
             
	;;#ASMEND
	;;#ASMSTART
	
             v_fmac_f32 v134, v24, v9 
             
	;;#ASMEND
	;; [unrolled: 5-line block ×16, first 2 shown]
	ds_load_b128 v[8:11], v178 offset:20992
	;;#ASMSTART
	
             v_fmac_f32 v50, v24, v20 
             
	;;#ASMEND
	;;#ASMSTART
	
             v_fmac_f32 v51, v24, v21 
             
	;;#ASMEND
	;; [unrolled: 5-line block ×16, first 2 shown]
	ds_load_b128 v[20:23], v178 offset:21248
	ds_load_b128 v[24:27], v177 offset:4864
	s_waitcnt lgkmcnt(2)
	;;#ASMSTART
	
             v_fmac_f32 v167, v0, v8 
             
	;;#ASMEND
	;;#ASMSTART
	
             v_fmac_f32 v176, v0, v9 
             
	;;#ASMEND
	;; [unrolled: 5-line block ×16, first 2 shown]
	s_waitcnt lgkmcnt(1)
	;;#ASMSTART
	
             v_fmac_f32 v163, v0, v20 
             
	;;#ASMEND
	;;#ASMSTART
	
             v_fmac_f32 v164, v0, v21 
             
	;;#ASMEND
	;; [unrolled: 5-line block ×16, first 2 shown]
	ds_load_b128 v[0:3], v177 offset:5120
	s_waitcnt lgkmcnt(1)
	;;#ASMSTART
	
             v_fmac_f32 v131, v24, v8 
             
	;;#ASMEND
	;;#ASMSTART
	
             v_fmac_f32 v134, v24, v9 
             
	;;#ASMEND
	;; [unrolled: 5-line block ×16, first 2 shown]
	ds_load_b128 v[8:11], v178 offset:21504
	;;#ASMSTART
	
             v_fmac_f32 v50, v24, v20 
             
	;;#ASMEND
	;;#ASMSTART
	
             v_fmac_f32 v51, v24, v21 
             
	;;#ASMEND
	;; [unrolled: 5-line block ×16, first 2 shown]
	ds_load_b128 v[20:23], v178 offset:21760
	ds_load_b128 v[24:27], v177 offset:5376
	s_waitcnt lgkmcnt(2)
	;;#ASMSTART
	
             v_fmac_f32 v167, v0, v8 
             
	;;#ASMEND
	;;#ASMSTART
	
             v_fmac_f32 v176, v0, v9 
             
	;;#ASMEND
	;; [unrolled: 5-line block ×16, first 2 shown]
	s_waitcnt lgkmcnt(1)
	;;#ASMSTART
	
             v_fmac_f32 v163, v0, v20 
             
	;;#ASMEND
	;;#ASMSTART
	
             v_fmac_f32 v164, v0, v21 
             
	;;#ASMEND
	;; [unrolled: 5-line block ×16, first 2 shown]
	ds_load_b128 v[0:3], v177 offset:5632
	s_waitcnt lgkmcnt(1)
	;;#ASMSTART
	
             v_fmac_f32 v131, v24, v8 
             
	;;#ASMEND
	;;#ASMSTART
	
             v_fmac_f32 v134, v24, v9 
             
	;;#ASMEND
	;; [unrolled: 5-line block ×16, first 2 shown]
	ds_load_b128 v[8:11], v178 offset:22016
	;;#ASMSTART
	
             v_fmac_f32 v50, v24, v20 
             
	;;#ASMEND
	;;#ASMSTART
	
             v_fmac_f32 v51, v24, v21 
             
	;;#ASMEND
	;; [unrolled: 5-line block ×16, first 2 shown]
	ds_load_b128 v[20:23], v178 offset:22272
	ds_load_b128 v[24:27], v177 offset:5888
	s_waitcnt lgkmcnt(2)
	;;#ASMSTART
	
             v_fmac_f32 v167, v0, v8 
             
	;;#ASMEND
	;;#ASMSTART
	
             v_fmac_f32 v176, v0, v9 
             
	;;#ASMEND
	;; [unrolled: 5-line block ×16, first 2 shown]
	s_waitcnt lgkmcnt(1)
	;;#ASMSTART
	
             v_fmac_f32 v163, v0, v20 
             
	;;#ASMEND
	;;#ASMSTART
	
             v_fmac_f32 v164, v0, v21 
             
	;;#ASMEND
	;;#ASMSTART
	
             v_fmac_f32 v161, v0, v22 
             
	;;#ASMEND
	;;#ASMSTART
	
             v_fmac_f32 v162, v0, v23 
             
	;;#ASMEND
	;;#ASMSTART
	
             v_fmac_f32 v147, v1, v20 
             
	;;#ASMEND
	;;#ASMSTART
	
             v_fmac_f32 v148, v1, v21 
             
	;;#ASMEND
	;;#ASMSTART
	
             v_fmac_f32 v82, v1, v22 
             
	;;#ASMEND
	;;#ASMSTART
	
             v_fmac_f32 v83, v1, v23 
             
	;;#ASMEND
	;;#ASMSTART
	
             v_fmac_f32 v70, v2, v20 
             
	;;#ASMEND
	;;#ASMSTART
	
             v_fmac_f32 v71, v2, v21 
             
	;;#ASMEND
	;;#ASMSTART
	
             v_fmac_f32 v68, v2, v22 
             
	;;#ASMEND
	;;#ASMSTART
	
             v_fmac_f32 v69, v2, v23 
             
	;;#ASMEND
	;;#ASMSTART
	
             v_fmac_f32 v87, v3, v20 
             
	;;#ASMEND
	;;#ASMSTART
	
             v_fmac_f32 v86, v3, v21 
             
	;;#ASMEND
	;;#ASMSTART
	
             v_fmac_f32 v84, v3, v22 
             
	;;#ASMEND
	;;#ASMSTART
	
             v_fmac_f32 v85, v3, v23 
             
	;;#ASMEND
	ds_load_b128 v[0:3], v177 offset:6144
	s_waitcnt lgkmcnt(1)
	;;#ASMSTART
	
             v_fmac_f32 v131, v24, v8 
             
	;;#ASMEND
	;;#ASMSTART
	
             v_fmac_f32 v134, v24, v9 
             
	;;#ASMEND
	;; [unrolled: 5-line block ×16, first 2 shown]
	ds_load_b128 v[8:11], v178 offset:22528
	;;#ASMSTART
	
             v_fmac_f32 v50, v24, v20 
             
	;;#ASMEND
	;;#ASMSTART
	
             v_fmac_f32 v51, v24, v21 
             
	;;#ASMEND
	;; [unrolled: 5-line block ×16, first 2 shown]
	ds_load_b128 v[20:23], v178 offset:22784
	ds_load_b128 v[24:27], v177 offset:6400
	s_waitcnt lgkmcnt(2)
	;;#ASMSTART
	
             v_fmac_f32 v167, v0, v8 
             
	;;#ASMEND
	;;#ASMSTART
	
             v_fmac_f32 v176, v0, v9 
             
	;;#ASMEND
	;; [unrolled: 5-line block ×16, first 2 shown]
	s_waitcnt lgkmcnt(1)
	;;#ASMSTART
	
             v_fmac_f32 v163, v0, v20 
             
	;;#ASMEND
	;;#ASMSTART
	
             v_fmac_f32 v164, v0, v21 
             
	;;#ASMEND
	;; [unrolled: 5-line block ×16, first 2 shown]
	ds_load_b128 v[0:3], v177 offset:6656
	s_waitcnt lgkmcnt(1)
	;;#ASMSTART
	
             v_fmac_f32 v131, v24, v8 
             
	;;#ASMEND
	;;#ASMSTART
	
             v_fmac_f32 v134, v24, v9 
             
	;;#ASMEND
	;; [unrolled: 5-line block ×16, first 2 shown]
	ds_load_b128 v[8:11], v178 offset:23040
	;;#ASMSTART
	
             v_fmac_f32 v50, v24, v20 
             
	;;#ASMEND
	;;#ASMSTART
	
             v_fmac_f32 v51, v24, v21 
             
	;;#ASMEND
	;; [unrolled: 5-line block ×16, first 2 shown]
	ds_load_b128 v[20:23], v178 offset:23296
	ds_load_b128 v[24:27], v177 offset:6912
	s_waitcnt lgkmcnt(2)
	;;#ASMSTART
	
             v_fmac_f32 v167, v0, v8 
             
	;;#ASMEND
	;;#ASMSTART
	
             v_fmac_f32 v176, v0, v9 
             
	;;#ASMEND
	;; [unrolled: 5-line block ×16, first 2 shown]
	s_waitcnt lgkmcnt(1)
	;;#ASMSTART
	
             v_fmac_f32 v163, v0, v20 
             
	;;#ASMEND
	;;#ASMSTART
	
             v_fmac_f32 v164, v0, v21 
             
	;;#ASMEND
	;; [unrolled: 5-line block ×16, first 2 shown]
	ds_load_b128 v[0:3], v177 offset:7168
	s_waitcnt lgkmcnt(1)
	;;#ASMSTART
	
             v_fmac_f32 v131, v24, v8 
             
	;;#ASMEND
	;;#ASMSTART
	
             v_fmac_f32 v134, v24, v9 
             
	;;#ASMEND
	;;#ASMSTART
	
             v_fmac_f32 v133, v24, v10 
             
	;;#ASMEND
	;;#ASMSTART
	
             v_fmac_f32 v132, v24, v11 
             
	;;#ASMEND
	;;#ASMSTART
	
             v_fmac_f32 v67, v25, v8 
             
	;;#ASMEND
	;;#ASMSTART
	
             v_fmac_f32 v66, v25, v9 
             
	;;#ASMEND
	;;#ASMSTART
	
             v_fmac_f32 v65, v25, v10 
             
	;;#ASMEND
	;;#ASMSTART
	
             v_fmac_f32 v64, v25, v11 
             
	;;#ASMEND
	;;#ASMSTART
	
             v_fmac_f32 v103, v26, v8 
             
	;;#ASMEND
	;;#ASMSTART
	
             v_fmac_f32 v102, v26, v9 
             
	;;#ASMEND
	;;#ASMSTART
	
             v_fmac_f32 v101, v26, v10 
             
	;;#ASMEND
	;;#ASMSTART
	
             v_fmac_f32 v100, v26, v11 
             
	;;#ASMEND
	;;#ASMSTART
	
             v_fmac_f32 v119, v27, v8 
             
	;;#ASMEND
	;;#ASMSTART
	
             v_fmac_f32 v118, v27, v9 
             
	;;#ASMEND
	;;#ASMSTART
	
             v_fmac_f32 v116, v27, v10 
             
	;;#ASMEND
	;;#ASMSTART
	
             v_fmac_f32 v117, v27, v11 
             
	;;#ASMEND
	ds_load_b128 v[8:11], v178 offset:23552
	;;#ASMSTART
	
             v_fmac_f32 v50, v24, v20 
             
	;;#ASMEND
	;;#ASMSTART
	
             v_fmac_f32 v51, v24, v21 
             
	;;#ASMEND
	;; [unrolled: 5-line block ×16, first 2 shown]
	ds_load_b128 v[20:23], v178 offset:23808
	ds_load_b128 v[24:27], v177 offset:7424
	s_waitcnt lgkmcnt(2)
	;;#ASMSTART
	
             v_fmac_f32 v167, v0, v8 
             
	;;#ASMEND
	;;#ASMSTART
	
             v_fmac_f32 v176, v0, v9 
             
	;;#ASMEND
	;; [unrolled: 5-line block ×16, first 2 shown]
	s_waitcnt lgkmcnt(1)
	;;#ASMSTART
	
             v_fmac_f32 v163, v0, v20 
             
	;;#ASMEND
	;;#ASMSTART
	
             v_fmac_f32 v164, v0, v21 
             
	;;#ASMEND
	;; [unrolled: 5-line block ×16, first 2 shown]
	ds_load_b128 v[0:3], v177 offset:7680
	s_waitcnt lgkmcnt(1)
	;;#ASMSTART
	
             v_fmac_f32 v131, v24, v8 
             
	;;#ASMEND
	;;#ASMSTART
	
             v_fmac_f32 v134, v24, v9 
             
	;;#ASMEND
	;; [unrolled: 5-line block ×16, first 2 shown]
	ds_load_b128 v[8:11], v178 offset:24064
	;;#ASMSTART
	
             v_fmac_f32 v50, v24, v20 
             
	;;#ASMEND
	;;#ASMSTART
	
             v_fmac_f32 v51, v24, v21 
             
	;;#ASMEND
	;; [unrolled: 5-line block ×16, first 2 shown]
	ds_load_b128 v[20:23], v178 offset:24320
	ds_load_b128 v[24:27], v177 offset:7936
	s_waitcnt lgkmcnt(2)
	;;#ASMSTART
	
             v_fmac_f32 v167, v0, v8 
             
	;;#ASMEND
	;;#ASMSTART
	
             v_fmac_f32 v176, v0, v9 
             
	;;#ASMEND
	;; [unrolled: 5-line block ×16, first 2 shown]
	s_waitcnt lgkmcnt(1)
	;;#ASMSTART
	
             v_fmac_f32 v163, v0, v20 
             
	;;#ASMEND
	;;#ASMSTART
	
             v_fmac_f32 v164, v0, v21 
             
	;;#ASMEND
	;; [unrolled: 5-line block ×16, first 2 shown]
	s_waitcnt lgkmcnt(0)
	;;#ASMSTART
	
             v_fmac_f32 v131, v24, v8 
             
	;;#ASMEND
	;;#ASMSTART
	
             v_fmac_f32 v134, v24, v9 
             
	;;#ASMEND
	;; [unrolled: 5-line block ×32, first 2 shown]
	s_clause 0x3
	flat_load_b64 v[16:17], v[12:13] offset:8
	flat_load_b32 v5, v[12:13] offset:32
	flat_load_b32 v179, v[12:13] offset:20
	;; [unrolled: 1-line block ×3, first 2 shown]
	v_lshl_add_u32 v178, s8, 7, v81
	v_mov_b32_e32 v21, 0x31004000
	s_mov_b32 s8, exec_lo
	s_waitcnt vmcnt(3) lgkmcnt(3)
	s_delay_alu instid0(VALU_DEP_2)
	v_mul_lo_u32 v0, v16, v178
	s_waitcnt vmcnt(2) lgkmcnt(2)
	v_cmp_gt_i32_e32 vcc_lo, v5, v38
	s_waitcnt vmcnt(1) lgkmcnt(1)
	v_cmp_gt_i32_e64 s1, v179, v178
	s_waitcnt vmcnt(0) lgkmcnt(0)
	v_lshlrev_b32_e32 v20, 2, v1
	s_delay_alu instid0(VALU_DEP_2) | instskip(SKIP_1) | instid1(VALU_DEP_1)
	s_and_b32 s0, s1, vcc_lo
	v_mad_u64_u32 v[8:9], null, v17, v38, v[0:1]
	v_lshlrev_b32_e32 v9, 2, v8
.LBB9_27:                               ; =>This Inner Loop Header: Depth=1
	v_readfirstlane_b32 s4, v18
	v_readfirstlane_b32 s5, v19
	;; [unrolled: 1-line block ×4, first 2 shown]
	s_delay_alu instid0(VALU_DEP_3) | instskip(NEXT) | instid1(VALU_DEP_2)
	v_cmp_eq_u64_e64 s2, s[4:5], v[18:19]
	v_cmp_eq_u64_e64 s3, s[6:7], v[20:21]
	s_delay_alu instid0(VALU_DEP_1) | instskip(NEXT) | instid1(SALU_CYCLE_1)
	s_and_b32 s2, s2, s3
	s_and_saveexec_b32 s2, s2
	buffer_load_b128 v[0:3], v9, s[4:7], 0 offen
                                        ; implicit-def: $vgpr9
	s_xor_b32 exec_lo, exec_lo, s2
	s_cbranch_execnz .LBB9_27
; %bb.28:
	s_mov_b32 exec_lo, s8
	s_waitcnt vmcnt(0)
	v_cndmask_b32_e64 v0, 0, v0, s0
	v_cndmask_b32_e64 v1, 0, v1, s0
	;; [unrolled: 1-line block ×4, first 2 shown]
	s_delay_alu instid0(VALU_DEP_4) | instskip(NEXT) | instid1(VALU_DEP_4)
	v_dual_add_f32 v0, v167, v0 :: v_dual_add_nc_u32 v177, 64, v38
	v_add_f32_e32 v1, v176, v1
	s_delay_alu instid0(VALU_DEP_3) | instskip(SKIP_1) | instid1(VALU_DEP_4)
	v_dual_add_f32 v2, v165, v2 :: v_dual_lshlrev_b32 v17, 6, v17
	v_add_f32_e32 v3, v166, v3
	v_cmp_gt_i32_e64 s0, v5, v177
	s_delay_alu instid0(VALU_DEP_4) | instskip(NEXT) | instid1(VALU_DEP_3)
	v_dual_max_f32 v26, 0, v0 :: v_dual_max_f32 v27, 0, v1
	v_dual_max_f32 v28, 0, v2 :: v_dual_max_f32 v29, 0, v3
	v_add_lshl_u32 v5, v8, v17, 2
	s_delay_alu instid0(VALU_DEP_4)
	s_and_b32 s1, s1, s0
	s_mov_b32 s8, exec_lo
.LBB9_29:                               ; =>This Inner Loop Header: Depth=1
	v_readfirstlane_b32 s4, v18
	v_readfirstlane_b32 s5, v19
	;; [unrolled: 1-line block ×4, first 2 shown]
	s_delay_alu instid0(VALU_DEP_3) | instskip(NEXT) | instid1(VALU_DEP_2)
	v_cmp_eq_u64_e64 s2, s[4:5], v[18:19]
	v_cmp_eq_u64_e64 s3, s[6:7], v[20:21]
	s_delay_alu instid0(VALU_DEP_1) | instskip(NEXT) | instid1(SALU_CYCLE_1)
	s_and_b32 s2, s2, s3
	s_and_saveexec_b32 s2, s2
	buffer_load_b128 v[0:3], v5, s[4:7], 0 offen
                                        ; implicit-def: $vgpr5
	s_xor_b32 exec_lo, exec_lo, s2
	s_cbranch_execnz .LBB9_29
; %bb.30:
	s_mov_b32 exec_lo, s8
	s_waitcnt vmcnt(0)
	v_cndmask_b32_e64 v0, 0, v0, s1
	v_cndmask_b32_e64 v1, 0, v1, s1
	;; [unrolled: 1-line block ×4, first 2 shown]
	v_or_b32_e32 v165, 1, v178
	s_delay_alu instid0(VALU_DEP_4) | instskip(NEXT) | instid1(VALU_DEP_3)
	v_dual_add_f32 v0, v163, v0 :: v_dual_add_f32 v1, v164, v1
	v_dual_add_f32 v2, v161, v2 :: v_dual_add_nc_u32 v5, v8, v16
	s_delay_alu instid0(VALU_DEP_2) | instskip(NEXT) | instid1(VALU_DEP_4)
	v_dual_add_f32 v3, v162, v3 :: v_dual_max_f32 v30, 0, v0
	v_cmp_gt_i32_e64 s1, v179, v165
	s_delay_alu instid0(VALU_DEP_3) | instskip(NEXT) | instid1(VALU_DEP_3)
	v_dual_max_f32 v31, 0, v1 :: v_dual_max_f32 v32, 0, v2
	v_dual_max_f32 v33, 0, v3 :: v_dual_lshlrev_b32 v8, 2, v5
	s_delay_alu instid0(VALU_DEP_3)
	s_and_b32 s2, s1, vcc_lo
	s_mov_b32 s5, exec_lo
.LBB9_31:                               ; =>This Inner Loop Header: Depth=1
	v_readfirstlane_b32 s8, v18
	v_readfirstlane_b32 s9, v19
	;; [unrolled: 1-line block ×4, first 2 shown]
	s_delay_alu instid0(VALU_DEP_3) | instskip(NEXT) | instid1(VALU_DEP_2)
	v_cmp_eq_u64_e64 s3, s[8:9], v[18:19]
	v_cmp_eq_u64_e64 s4, s[10:11], v[20:21]
	s_delay_alu instid0(VALU_DEP_1) | instskip(NEXT) | instid1(SALU_CYCLE_1)
	s_and_b32 s3, s3, s4
	s_and_saveexec_b32 s3, s3
	buffer_load_b128 v[0:3], v8, s[8:11], 0 offen
                                        ; implicit-def: $vgpr8
	s_xor_b32 exec_lo, exec_lo, s3
	s_cbranch_execnz .LBB9_31
; %bb.32:
	s_mov_b32 exec_lo, s5
	s_waitcnt vmcnt(0)
	v_cndmask_b32_e64 v0, 0, v0, s2
	v_cndmask_b32_e64 v1, 0, v1, s2
	;; [unrolled: 1-line block ×4, first 2 shown]
	v_add_lshl_u32 v8, v5, v17, 2
	s_delay_alu instid0(VALU_DEP_4) | instskip(NEXT) | instid1(VALU_DEP_3)
	v_dual_add_f32 v0, v160, v0 :: v_dual_add_f32 v1, v151, v1
	v_dual_add_f32 v2, v150, v2 :: v_dual_add_f32 v3, v149, v3
	s_and_b32 s1, s1, s0
	s_delay_alu instid0(VALU_DEP_2) | instskip(NEXT) | instid1(VALU_DEP_2)
	v_dual_max_f32 v22, 0, v0 :: v_dual_max_f32 v23, 0, v1
	v_dual_max_f32 v24, 0, v2 :: v_dual_max_f32 v25, 0, v3
	s_mov_b32 s8, exec_lo
.LBB9_33:                               ; =>This Inner Loop Header: Depth=1
	v_readfirstlane_b32 s4, v18
	v_readfirstlane_b32 s5, v19
	;; [unrolled: 1-line block ×4, first 2 shown]
	s_delay_alu instid0(VALU_DEP_3) | instskip(NEXT) | instid1(VALU_DEP_2)
	v_cmp_eq_u64_e64 s2, s[4:5], v[18:19]
	v_cmp_eq_u64_e64 s3, s[6:7], v[20:21]
	s_delay_alu instid0(VALU_DEP_1) | instskip(NEXT) | instid1(SALU_CYCLE_1)
	s_and_b32 s2, s2, s3
	s_and_saveexec_b32 s2, s2
	buffer_load_b128 v[0:3], v8, s[4:7], 0 offen
                                        ; implicit-def: $vgpr8
	s_xor_b32 exec_lo, exec_lo, s2
	s_cbranch_execnz .LBB9_33
; %bb.34:
	s_mov_b32 exec_lo, s8
	s_waitcnt vmcnt(0)
	v_cndmask_b32_e64 v0, 0, v0, s1
	v_cndmask_b32_e64 v1, 0, v1, s1
	;; [unrolled: 1-line block ×4, first 2 shown]
	v_or_b32_e32 v149, 2, v178
	s_delay_alu instid0(VALU_DEP_4) | instskip(NEXT) | instid1(VALU_DEP_3)
	v_dual_add_f32 v0, v147, v0 :: v_dual_add_f32 v1, v148, v1
	v_dual_add_f32 v2, v82, v2 :: v_dual_add_nc_u32 v5, v5, v16
	s_delay_alu instid0(VALU_DEP_2) | instskip(NEXT) | instid1(VALU_DEP_4)
	v_dual_add_f32 v3, v83, v3 :: v_dual_max_f32 v80, 0, v0
	v_cmp_gt_i32_e64 s1, v179, v149
	s_delay_alu instid0(VALU_DEP_3) | instskip(NEXT) | instid1(VALU_DEP_3)
	v_dual_max_f32 v81, 0, v1 :: v_dual_max_f32 v82, 0, v2
	v_dual_max_f32 v83, 0, v3 :: v_dual_lshlrev_b32 v8, 2, v5
	s_delay_alu instid0(VALU_DEP_3)
	s_and_b32 s2, s1, vcc_lo
	s_mov_b32 s5, exec_lo
.LBB9_35:                               ; =>This Inner Loop Header: Depth=1
	v_readfirstlane_b32 s8, v18
	v_readfirstlane_b32 s9, v19
	;; [unrolled: 1-line block ×4, first 2 shown]
	s_delay_alu instid0(VALU_DEP_3) | instskip(NEXT) | instid1(VALU_DEP_2)
	v_cmp_eq_u64_e64 s3, s[8:9], v[18:19]
	v_cmp_eq_u64_e64 s4, s[10:11], v[20:21]
	s_delay_alu instid0(VALU_DEP_1) | instskip(NEXT) | instid1(SALU_CYCLE_1)
	s_and_b32 s3, s3, s4
	s_and_saveexec_b32 s3, s3
	buffer_load_b128 v[0:3], v8, s[8:11], 0 offen
                                        ; implicit-def: $vgpr8
	s_xor_b32 exec_lo, exec_lo, s3
	s_cbranch_execnz .LBB9_35
; %bb.36:
	s_mov_b32 exec_lo, s5
	s_waitcnt vmcnt(0)
	v_cndmask_b32_e64 v0, 0, v0, s2
	v_cndmask_b32_e64 v1, 0, v1, s2
	;; [unrolled: 1-line block ×4, first 2 shown]
	v_add_lshl_u32 v8, v5, v17, 2
	s_delay_alu instid0(VALU_DEP_4) | instskip(NEXT) | instid1(VALU_DEP_3)
	v_dual_add_f32 v0, v55, v0 :: v_dual_add_f32 v1, v54, v1
	v_dual_add_f32 v2, v53, v2 :: v_dual_add_f32 v3, v52, v3
	s_and_b32 s1, s1, s0
	s_delay_alu instid0(VALU_DEP_2) | instskip(NEXT) | instid1(VALU_DEP_2)
	v_dual_max_f32 v52, 0, v0 :: v_dual_max_f32 v53, 0, v1
	v_dual_max_f32 v54, 0, v2 :: v_dual_max_f32 v55, 0, v3
	s_mov_b32 s8, exec_lo
.LBB9_37:                               ; =>This Inner Loop Header: Depth=1
	v_readfirstlane_b32 s4, v18
	v_readfirstlane_b32 s5, v19
	;; [unrolled: 1-line block ×4, first 2 shown]
	s_delay_alu instid0(VALU_DEP_3) | instskip(NEXT) | instid1(VALU_DEP_2)
	v_cmp_eq_u64_e64 s2, s[4:5], v[18:19]
	v_cmp_eq_u64_e64 s3, s[6:7], v[20:21]
	s_delay_alu instid0(VALU_DEP_1) | instskip(NEXT) | instid1(SALU_CYCLE_1)
	s_and_b32 s2, s2, s3
	s_and_saveexec_b32 s2, s2
	buffer_load_b128 v[0:3], v8, s[4:7], 0 offen
                                        ; implicit-def: $vgpr8
	s_xor_b32 exec_lo, exec_lo, s2
	s_cbranch_execnz .LBB9_37
; %bb.38:
	s_mov_b32 exec_lo, s8
	s_waitcnt vmcnt(0)
	v_cndmask_b32_e64 v0, 0, v0, s1
	v_cndmask_b32_e64 v1, 0, v1, s1
	;; [unrolled: 1-line block ×4, first 2 shown]
	v_or_b32_e32 v147, 3, v178
	s_delay_alu instid0(VALU_DEP_4) | instskip(NEXT) | instid1(VALU_DEP_3)
	v_dual_add_f32 v0, v70, v0 :: v_dual_add_f32 v1, v71, v1
	v_dual_add_f32 v2, v68, v2 :: v_dual_add_nc_u32 v5, v5, v16
	s_delay_alu instid0(VALU_DEP_2) | instskip(NEXT) | instid1(VALU_DEP_4)
	v_dual_add_f32 v3, v69, v3 :: v_dual_max_f32 v68, 0, v0
	v_cmp_gt_i32_e64 s1, v179, v147
	s_delay_alu instid0(VALU_DEP_3) | instskip(NEXT) | instid1(VALU_DEP_3)
	v_dual_max_f32 v69, 0, v1 :: v_dual_max_f32 v70, 0, v2
	v_dual_max_f32 v71, 0, v3 :: v_dual_lshlrev_b32 v8, 2, v5
	s_delay_alu instid0(VALU_DEP_3)
	s_and_b32 s2, s1, vcc_lo
	s_mov_b32 s5, exec_lo
.LBB9_39:                               ; =>This Inner Loop Header: Depth=1
	v_readfirstlane_b32 s8, v18
	v_readfirstlane_b32 s9, v19
	;; [unrolled: 1-line block ×4, first 2 shown]
	s_delay_alu instid0(VALU_DEP_3) | instskip(NEXT) | instid1(VALU_DEP_2)
	v_cmp_eq_u64_e64 s3, s[8:9], v[18:19]
	v_cmp_eq_u64_e64 s4, s[10:11], v[20:21]
	s_delay_alu instid0(VALU_DEP_1) | instskip(NEXT) | instid1(SALU_CYCLE_1)
	s_and_b32 s3, s3, s4
	s_and_saveexec_b32 s3, s3
	buffer_load_b128 v[0:3], v8, s[8:11], 0 offen
                                        ; implicit-def: $vgpr8
	s_xor_b32 exec_lo, exec_lo, s3
	s_cbranch_execnz .LBB9_39
; %bb.40:
	s_mov_b32 exec_lo, s5
	s_waitcnt vmcnt(0)
	v_cndmask_b32_e64 v0, 0, v0, s2
	v_cndmask_b32_e64 v1, 0, v1, s2
	;; [unrolled: 1-line block ×4, first 2 shown]
	v_add_lshl_u32 v8, v5, v17, 2
	s_delay_alu instid0(VALU_DEP_4) | instskip(NEXT) | instid1(VALU_DEP_3)
	v_dual_add_f32 v0, v146, v0 :: v_dual_add_f32 v1, v145, v1
	v_dual_add_f32 v2, v144, v2 :: v_dual_add_f32 v3, v135, v3
	s_and_b32 s1, s1, s0
	s_delay_alu instid0(VALU_DEP_2) | instskip(NEXT) | instid1(VALU_DEP_2)
	v_dual_max_f32 v34, 0, v0 :: v_dual_max_f32 v35, 0, v1
	v_dual_max_f32 v36, 0, v2 :: v_dual_max_f32 v37, 0, v3
	s_mov_b32 s8, exec_lo
.LBB9_41:                               ; =>This Inner Loop Header: Depth=1
	v_readfirstlane_b32 s4, v18
	v_readfirstlane_b32 s5, v19
	;; [unrolled: 1-line block ×4, first 2 shown]
	s_delay_alu instid0(VALU_DEP_3) | instskip(NEXT) | instid1(VALU_DEP_2)
	v_cmp_eq_u64_e64 s2, s[4:5], v[18:19]
	v_cmp_eq_u64_e64 s3, s[6:7], v[20:21]
	s_delay_alu instid0(VALU_DEP_1) | instskip(NEXT) | instid1(SALU_CYCLE_1)
	s_and_b32 s2, s2, s3
	s_and_saveexec_b32 s2, s2
	buffer_load_b128 v[0:3], v8, s[4:7], 0 offen
                                        ; implicit-def: $vgpr8
	s_xor_b32 exec_lo, exec_lo, s2
	s_cbranch_execnz .LBB9_41
; %bb.42:
	s_mov_b32 exec_lo, s8
	s_waitcnt vmcnt(0)
	v_cndmask_b32_e64 v0, 0, v0, s1
	v_cndmask_b32_e64 v1, 0, v1, s1
	;; [unrolled: 1-line block ×4, first 2 shown]
	v_mad_u64_u32 v[12:13], null, v16, 61, v[5:6]
	s_delay_alu instid0(VALU_DEP_4) | instskip(SKIP_1) | instid1(VALU_DEP_4)
	v_dual_add_f32 v0, v87, v0 :: v_dual_add_f32 v1, v86, v1
	v_add_nc_u32_e32 v135, 64, v178
	v_dual_add_f32 v2, v84, v2 :: v_dual_add_f32 v3, v85, v3
	s_delay_alu instid0(VALU_DEP_3) | instskip(NEXT) | instid1(VALU_DEP_3)
	v_dual_max_f32 v84, 0, v0 :: v_dual_max_f32 v85, 0, v1
	v_cmp_gt_i32_e64 s1, v179, v135
	s_delay_alu instid0(VALU_DEP_3) | instskip(SKIP_2) | instid1(VALU_DEP_3)
	v_dual_max_f32 v86, 0, v2 :: v_dual_max_f32 v87, 0, v3
	v_lshlrev_b32_e32 v5, 2, v12
	s_mov_b32 s5, exec_lo
	s_and_b32 s2, s1, vcc_lo
.LBB9_43:                               ; =>This Inner Loop Header: Depth=1
	v_readfirstlane_b32 s8, v18
	v_readfirstlane_b32 s9, v19
	;; [unrolled: 1-line block ×4, first 2 shown]
	s_delay_alu instid0(VALU_DEP_3) | instskip(NEXT) | instid1(VALU_DEP_2)
	v_cmp_eq_u64_e64 s3, s[8:9], v[18:19]
	v_cmp_eq_u64_e64 s4, s[10:11], v[20:21]
	s_delay_alu instid0(VALU_DEP_1) | instskip(NEXT) | instid1(SALU_CYCLE_1)
	s_and_b32 s3, s3, s4
	s_and_saveexec_b32 s3, s3
	buffer_load_b128 v[0:3], v5, s[8:11], 0 offen
                                        ; implicit-def: $vgpr5
	s_xor_b32 exec_lo, exec_lo, s3
	s_cbranch_execnz .LBB9_43
; %bb.44:
	s_mov_b32 exec_lo, s5
	s_waitcnt vmcnt(0)
	v_cndmask_b32_e64 v0, 0, v0, s2
	v_cndmask_b32_e64 v1, 0, v1, s2
	;; [unrolled: 1-line block ×4, first 2 shown]
	v_add_lshl_u32 v5, v12, v17, 2
	s_delay_alu instid0(VALU_DEP_4) | instskip(NEXT) | instid1(VALU_DEP_3)
	v_dual_add_f32 v0, v131, v0 :: v_dual_add_f32 v1, v134, v1
	v_dual_add_f32 v2, v133, v2 :: v_dual_add_f32 v3, v132, v3
	s_and_b32 s1, s1, s0
	s_delay_alu instid0(VALU_DEP_2) | instskip(NEXT) | instid1(VALU_DEP_2)
	v_dual_max_f32 v0, 0, v0 :: v_dual_max_f32 v1, 0, v1
	v_dual_max_f32 v2, 0, v2 :: v_dual_max_f32 v3, 0, v3
	s_mov_b32 s8, exec_lo
.LBB9_45:                               ; =>This Inner Loop Header: Depth=1
	v_readfirstlane_b32 s4, v18
	v_readfirstlane_b32 s5, v19
	;; [unrolled: 1-line block ×4, first 2 shown]
	s_delay_alu instid0(VALU_DEP_3) | instskip(NEXT) | instid1(VALU_DEP_2)
	v_cmp_eq_u64_e64 s2, s[4:5], v[18:19]
	v_cmp_eq_u64_e64 s3, s[6:7], v[20:21]
	s_delay_alu instid0(VALU_DEP_1) | instskip(NEXT) | instid1(SALU_CYCLE_1)
	s_and_b32 s2, s2, s3
	s_and_saveexec_b32 s2, s2
	buffer_load_b128 v[8:11], v5, s[4:7], 0 offen
                                        ; implicit-def: $vgpr5
	s_xor_b32 exec_lo, exec_lo, s2
	s_cbranch_execnz .LBB9_45
; %bb.46:
	s_mov_b32 exec_lo, s8
	s_waitcnt vmcnt(0)
	v_cndmask_b32_e64 v8, 0, v8, s1
	v_cndmask_b32_e64 v9, 0, v9, s1
	;; [unrolled: 1-line block ×4, first 2 shown]
	v_add_nc_u32_e32 v5, 0x41, v178
	v_add_f32_e32 v13, v50, v8
	v_dual_add_f32 v9, v51, v9 :: v_dual_add_nc_u32 v8, v12, v16
	s_delay_alu instid0(VALU_DEP_4) | instskip(SKIP_3) | instid1(VALU_DEP_4)
	v_add_f32_e32 v12, v48, v10
	v_add_f32_e32 v48, v49, v11
	v_cmp_gt_i32_e64 s1, v179, v5
	v_max_f32_e32 v10, 0, v13
	v_dual_max_f32 v11, 0, v9 :: v_dual_max_f32 v12, 0, v12
	s_delay_alu instid0(VALU_DEP_4)
	v_max_f32_e32 v13, 0, v48
	v_lshlrev_b32_e32 v9, 2, v8
	s_and_b32 s2, s1, vcc_lo
	s_mov_b32 s5, exec_lo
.LBB9_47:                               ; =>This Inner Loop Header: Depth=1
	v_readfirstlane_b32 s8, v18
	v_readfirstlane_b32 s9, v19
	;; [unrolled: 1-line block ×4, first 2 shown]
	s_delay_alu instid0(VALU_DEP_3) | instskip(NEXT) | instid1(VALU_DEP_2)
	v_cmp_eq_u64_e64 s3, s[8:9], v[18:19]
	v_cmp_eq_u64_e64 s4, s[10:11], v[20:21]
	s_delay_alu instid0(VALU_DEP_1) | instskip(NEXT) | instid1(SALU_CYCLE_1)
	s_and_b32 s3, s3, s4
	s_and_saveexec_b32 s3, s3
	buffer_load_b128 v[48:51], v9, s[8:11], 0 offen
                                        ; implicit-def: $vgpr9
	s_xor_b32 exec_lo, exec_lo, s3
	s_cbranch_execnz .LBB9_47
; %bb.48:
	s_mov_b32 exec_lo, s5
	s_waitcnt vmcnt(0)
	v_cndmask_b32_e64 v9, 0, v48, s2
	v_cndmask_b32_e64 v48, 0, v49, s2
	;; [unrolled: 1-line block ×4, first 2 shown]
	s_and_b32 s1, s1, s0
	v_add_f32_e32 v9, v67, v9
	s_mov_b32 s8, exec_lo
	s_delay_alu instid0(VALU_DEP_2) | instskip(NEXT) | instid1(VALU_DEP_2)
	v_dual_add_f32 v65, v65, v49 :: v_dual_add_f32 v64, v64, v50
	v_dual_add_f32 v51, v66, v48 :: v_dual_max_f32 v48, 0, v9
	v_add_lshl_u32 v9, v8, v17, 2
	s_delay_alu instid0(VALU_DEP_2) | instskip(NEXT) | instid1(VALU_DEP_4)
	v_dual_max_f32 v50, 0, v65 :: v_dual_max_f32 v49, 0, v51
	v_max_f32_e32 v51, 0, v64
.LBB9_49:                               ; =>This Inner Loop Header: Depth=1
	v_readfirstlane_b32 s4, v18
	v_readfirstlane_b32 s5, v19
	;; [unrolled: 1-line block ×4, first 2 shown]
	s_delay_alu instid0(VALU_DEP_3) | instskip(NEXT) | instid1(VALU_DEP_2)
	v_cmp_eq_u64_e64 s2, s[4:5], v[18:19]
	v_cmp_eq_u64_e64 s3, s[6:7], v[20:21]
	s_delay_alu instid0(VALU_DEP_1) | instskip(NEXT) | instid1(SALU_CYCLE_1)
	s_and_b32 s2, s2, s3
	s_and_saveexec_b32 s2, s2
	buffer_load_b128 v[64:67], v9, s[4:7], 0 offen
                                        ; implicit-def: $vgpr9
	s_xor_b32 exec_lo, exec_lo, s2
	s_cbranch_execnz .LBB9_49
; %bb.50:
	s_mov_b32 exec_lo, s8
	s_waitcnt vmcnt(0)
	v_cndmask_b32_e64 v9, 0, v64, s1
	v_cndmask_b32_e64 v64, 0, v65, s1
	;; [unrolled: 1-line block ×4, first 2 shown]
	v_add_nc_u32_e32 v131, 0x42, v178
	v_dual_add_f32 v9, v98, v9 :: v_dual_add_nc_u32 v8, v8, v16
	s_delay_alu instid0(VALU_DEP_3) | instskip(SKIP_1) | instid1(VALU_DEP_4)
	v_dual_add_f32 v67, v99, v64 :: v_dual_add_f32 v66, v96, v66
	v_add_f32_e32 v96, v97, v65
	v_cmp_gt_i32_e64 s1, v179, v131
	s_delay_alu instid0(VALU_DEP_3) | instskip(NEXT) | instid1(VALU_DEP_3)
	v_dual_max_f32 v64, 0, v9 :: v_dual_max_f32 v65, 0, v67
	v_dual_max_f32 v66, 0, v66 :: v_dual_max_f32 v67, 0, v96
	v_lshlrev_b32_e32 v9, 2, v8
	s_delay_alu instid0(VALU_DEP_4)
	s_and_b32 s2, s1, vcc_lo
	s_mov_b32 s5, exec_lo
.LBB9_51:                               ; =>This Inner Loop Header: Depth=1
	v_readfirstlane_b32 s8, v18
	v_readfirstlane_b32 s9, v19
	;; [unrolled: 1-line block ×4, first 2 shown]
	s_delay_alu instid0(VALU_DEP_3) | instskip(NEXT) | instid1(VALU_DEP_2)
	v_cmp_eq_u64_e64 s3, s[8:9], v[18:19]
	v_cmp_eq_u64_e64 s4, s[10:11], v[20:21]
	s_delay_alu instid0(VALU_DEP_1) | instskip(NEXT) | instid1(SALU_CYCLE_1)
	s_and_b32 s3, s3, s4
	s_and_saveexec_b32 s3, s3
	buffer_load_b128 v[96:99], v9, s[8:11], 0 offen
                                        ; implicit-def: $vgpr9
	s_xor_b32 exec_lo, exec_lo, s3
	s_cbranch_execnz .LBB9_51
; %bb.52:
	s_mov_b32 exec_lo, s5
	s_waitcnt vmcnt(0)
	v_cndmask_b32_e64 v9, 0, v96, s2
	v_cndmask_b32_e64 v96, 0, v97, s2
	;; [unrolled: 1-line block ×4, first 2 shown]
	s_and_b32 s1, s1, s0
	v_add_f32_e32 v9, v103, v9
	s_mov_b32 s8, exec_lo
	s_delay_alu instid0(VALU_DEP_2) | instskip(NEXT) | instid1(VALU_DEP_2)
	v_dual_add_f32 v101, v101, v97 :: v_dual_add_f32 v100, v100, v98
	v_dual_add_f32 v99, v102, v96 :: v_dual_max_f32 v96, 0, v9
	v_add_lshl_u32 v9, v8, v17, 2
	s_delay_alu instid0(VALU_DEP_2) | instskip(NEXT) | instid1(VALU_DEP_4)
	v_dual_max_f32 v98, 0, v101 :: v_dual_max_f32 v97, 0, v99
	v_max_f32_e32 v99, 0, v100
.LBB9_53:                               ; =>This Inner Loop Header: Depth=1
	v_readfirstlane_b32 s4, v18
	v_readfirstlane_b32 s5, v19
	;; [unrolled: 1-line block ×4, first 2 shown]
	s_delay_alu instid0(VALU_DEP_3) | instskip(NEXT) | instid1(VALU_DEP_2)
	v_cmp_eq_u64_e64 s2, s[4:5], v[18:19]
	v_cmp_eq_u64_e64 s3, s[6:7], v[20:21]
	s_delay_alu instid0(VALU_DEP_1) | instskip(NEXT) | instid1(SALU_CYCLE_1)
	s_and_b32 s2, s2, s3
	s_and_saveexec_b32 s2, s2
	buffer_load_b128 v[100:103], v9, s[4:7], 0 offen
                                        ; implicit-def: $vgpr9
	s_xor_b32 exec_lo, exec_lo, s2
	s_cbranch_execnz .LBB9_53
; %bb.54:
	s_mov_b32 exec_lo, s8
	s_waitcnt vmcnt(0)
	v_cndmask_b32_e64 v9, 0, v100, s1
	v_cndmask_b32_e64 v100, 0, v101, s1
	;; [unrolled: 1-line block ×4, first 2 shown]
	s_delay_alu instid0(VALU_DEP_4) | instskip(NEXT) | instid1(VALU_DEP_4)
	v_dual_add_f32 v9, v114, v9 :: v_dual_add_nc_u32 v132, 0x43, v178
	v_add_f32_e32 v103, v115, v100
	v_add_nc_u32_e32 v8, v8, v16
	s_delay_alu instid0(VALU_DEP_4) | instskip(SKIP_3) | instid1(VALU_DEP_4)
	v_add_f32_e32 v16, v112, v102
	v_add_f32_e32 v112, v113, v101
	v_cmp_gt_i32_e64 s1, v179, v132
	v_dual_max_f32 v100, 0, v9 :: v_dual_max_f32 v101, 0, v103
	v_max_f32_e32 v102, 0, v16
	v_lshlrev_b32_e32 v9, 2, v8
	v_max_f32_e32 v103, 0, v112
	s_and_b32 vcc_lo, s1, vcc_lo
	s_mov_b32 s8, exec_lo
.LBB9_55:                               ; =>This Inner Loop Header: Depth=1
	v_readfirstlane_b32 s4, v18
	v_readfirstlane_b32 s5, v19
	;; [unrolled: 1-line block ×4, first 2 shown]
	s_delay_alu instid0(VALU_DEP_3) | instskip(NEXT) | instid1(VALU_DEP_2)
	v_cmp_eq_u64_e64 s2, s[4:5], v[18:19]
	v_cmp_eq_u64_e64 s3, s[6:7], v[20:21]
	s_delay_alu instid0(VALU_DEP_1) | instskip(NEXT) | instid1(SALU_CYCLE_1)
	s_and_b32 s2, s2, s3
	s_and_saveexec_b32 s2, s2
	buffer_load_b128 v[112:115], v9, s[4:7], 0 offen
                                        ; implicit-def: $vgpr9
	s_xor_b32 exec_lo, exec_lo, s2
	s_cbranch_execnz .LBB9_55
; %bb.56:
	s_mov_b32 exec_lo, s8
	s_waitcnt vmcnt(0)
	v_dual_cndmask_b32 v9, 0, v112 :: v_dual_cndmask_b32 v16, 0, v113
	v_dual_cndmask_b32 v112, 0, v114 :: v_dual_cndmask_b32 v113, 0, v115
	v_add_lshl_u32 v8, v8, v17, 2
	s_delay_alu instid0(VALU_DEP_3) | instskip(NEXT) | instid1(VALU_DEP_3)
	v_dual_add_f32 v9, v119, v9 :: v_dual_add_f32 v16, v118, v16
	v_dual_add_f32 v114, v116, v112 :: v_dual_add_f32 v115, v117, v113
	s_and_b32 vcc_lo, s1, s0
	s_delay_alu instid0(VALU_DEP_2) | instskip(NEXT) | instid1(VALU_DEP_2)
	v_dual_max_f32 v112, 0, v9 :: v_dual_max_f32 v113, 0, v16
	v_dual_max_f32 v114, 0, v114 :: v_dual_max_f32 v115, 0, v115
	s_mov_b32 s2, exec_lo
.LBB9_57:                               ; =>This Inner Loop Header: Depth=1
	v_readfirstlane_b32 s4, v18
	v_readfirstlane_b32 s5, v19
	;; [unrolled: 1-line block ×4, first 2 shown]
	s_delay_alu instid0(VALU_DEP_3) | instskip(NEXT) | instid1(VALU_DEP_2)
	v_cmp_eq_u64_e64 s0, s[4:5], v[18:19]
	v_cmp_eq_u64_e64 s1, s[6:7], v[20:21]
	s_delay_alu instid0(VALU_DEP_1) | instskip(NEXT) | instid1(SALU_CYCLE_1)
	s_and_b32 s0, s0, s1
	s_and_saveexec_b32 s0, s0
	buffer_load_b128 v[116:119], v8, s[4:7], 0 offen
                                        ; implicit-def: $vgpr18_vgpr19_vgpr20_vgpr21
                                        ; implicit-def: $vgpr8
	s_xor_b32 exec_lo, exec_lo, s0
	s_cbranch_execnz .LBB9_57
; %bb.58:
	s_mov_b32 exec_lo, s2
	s_clause 0x2
	flat_load_b64 v[8:9], v[14:15] offset:8
	flat_load_b32 v17, v[14:15] offset:32
	flat_load_b32 v18, v[14:15] offset:20
	s_waitcnt vmcnt(3)
	v_dual_cndmask_b32 v16, 0, v116 :: v_dual_cndmask_b32 v19, 0, v117
	v_cndmask_b32_e32 v20, 0, v118, vcc_lo
	s_mov_b32 s1, exec_lo
	s_delay_alu instid0(VALU_DEP_2) | instskip(NEXT) | instid1(VALU_DEP_3)
	v_dual_cndmask_b32 v21, 0, v119 :: v_dual_add_f32 v16, v129, v16
	v_add_f32_e32 v19, v39, v19
	s_delay_alu instid0(VALU_DEP_2) | instskip(NEXT) | instid1(VALU_DEP_3)
	v_dual_add_f32 v39, v128, v20 :: v_dual_add_f32 v116, v130, v21
	v_max_f32_e32 v16, 0, v16
	s_waitcnt vmcnt(2) lgkmcnt(2)
	v_mul_lo_u32 v8, v8, v178
	s_waitcnt vmcnt(1) lgkmcnt(1)
	v_cmp_gt_i32_e32 vcc_lo, v17, v38
	v_max_f32_e32 v17, 0, v19
	s_waitcnt vmcnt(0) lgkmcnt(0)
	v_cmp_gt_i32_e64 s0, v18, v178
	v_dual_max_f32 v18, 0, v39 :: v_dual_max_f32 v19, 0, v116
	s_delay_alu instid0(VALU_DEP_2) | instskip(SKIP_3) | instid1(VALU_DEP_2)
	s_and_b32 s0, s0, vcc_lo
	v_mad_u64_u32 v[20:21], null, v9, v38, v[8:9]
	v_cndmask_b32_e64 v21, 0x80000000, 0, s0
	v_dual_mov_b32 v9, 0x31004000 :: v_dual_lshlrev_b32 v8, 2, v4
	v_lshl_add_u32 v4, v20, 2, v21
.LBB9_59:                               ; =>This Inner Loop Header: Depth=1
	v_readfirstlane_b32 s4, v6
	v_readfirstlane_b32 s5, v7
	s_delay_alu instid0(VALU_DEP_4) | instskip(SKIP_1) | instid1(VALU_DEP_3)
	v_readfirstlane_b32 s6, v8
	v_readfirstlane_b32 s7, v9
	v_cmp_eq_u64_e32 vcc_lo, s[4:5], v[6:7]
	s_delay_alu instid0(VALU_DEP_2) | instskip(NEXT) | instid1(VALU_DEP_1)
	v_cmp_eq_u64_e64 s0, s[6:7], v[8:9]
	s_and_b32 s0, vcc_lo, s0
	s_delay_alu instid0(SALU_CYCLE_1)
	s_and_saveexec_b32 s0, s0
	buffer_store_b128 v[26:29], v4, s[4:7], 0 offen
                                        ; implicit-def: $vgpr26_vgpr27_vgpr28_vgpr29
                                        ; implicit-def: $vgpr4
	s_xor_b32 exec_lo, exec_lo, s0
	s_cbranch_execnz .LBB9_59
; %bb.60:
	s_mov_b32 exec_lo, s1
	s_clause 0x2
	flat_load_b32 v4, v[14:15] offset:32
	flat_load_b32 v21, v[14:15] offset:20
	;; [unrolled: 1-line block ×3, first 2 shown]
	s_mov_b32 s1, exec_lo
	s_waitcnt vmcnt(2) lgkmcnt(2)
	v_cmp_gt_i32_e32 vcc_lo, v4, v177
	s_waitcnt vmcnt(1) lgkmcnt(1)
	v_cmp_gt_i32_e64 s0, v21, v178
	s_waitcnt vmcnt(0) lgkmcnt(0)
	v_lshl_add_u32 v4, v26, 6, v20
	s_delay_alu instid0(VALU_DEP_2) | instskip(NEXT) | instid1(SALU_CYCLE_1)
	s_and_b32 s0, s0, vcc_lo
	v_cndmask_b32_e64 v20, 0x80000000, 0, s0
	s_delay_alu instid0(VALU_DEP_1)
	v_lshl_add_u32 v20, v4, 2, v20
.LBB9_61:                               ; =>This Inner Loop Header: Depth=1
	v_readfirstlane_b32 s4, v6
	v_readfirstlane_b32 s5, v7
	;; [unrolled: 1-line block ×4, first 2 shown]
	s_delay_alu instid0(VALU_DEP_3) | instskip(NEXT) | instid1(VALU_DEP_2)
	v_cmp_eq_u64_e32 vcc_lo, s[4:5], v[6:7]
	v_cmp_eq_u64_e64 s0, s[6:7], v[8:9]
	s_delay_alu instid0(VALU_DEP_1) | instskip(NEXT) | instid1(SALU_CYCLE_1)
	s_and_b32 s0, vcc_lo, s0
	s_and_saveexec_b32 s0, s0
	buffer_store_b128 v[30:33], v20, s[4:7], 0 offen
                                        ; implicit-def: $vgpr30_vgpr31_vgpr32_vgpr33
                                        ; implicit-def: $vgpr20
	s_xor_b32 exec_lo, exec_lo, s0
	s_cbranch_execnz .LBB9_61
; %bb.62:
	s_mov_b32 exec_lo, s1
	s_clause 0x2
	flat_load_b32 v20, v[14:15] offset:32
	flat_load_b32 v21, v[14:15] offset:20
	;; [unrolled: 1-line block ×3, first 2 shown]
	s_mov_b32 s1, exec_lo
	s_waitcnt vmcnt(2) lgkmcnt(2)
	v_cmp_gt_i32_e32 vcc_lo, v20, v177
	s_waitcnt vmcnt(1) lgkmcnt(1)
	v_cmp_gt_i32_e64 s0, v21, v165
	s_waitcnt vmcnt(0) lgkmcnt(0)
	v_add_nc_u32_e32 v4, v26, v4
	s_delay_alu instid0(VALU_DEP_2) | instskip(NEXT) | instid1(SALU_CYCLE_1)
	s_and_b32 s0, s0, vcc_lo
	v_cndmask_b32_e64 v20, 0x80000000, 0, s0
	s_delay_alu instid0(VALU_DEP_1)
	v_lshl_add_u32 v20, v4, 2, v20
.LBB9_63:                               ; =>This Inner Loop Header: Depth=1
	v_readfirstlane_b32 s4, v6
	v_readfirstlane_b32 s5, v7
	;; [unrolled: 1-line block ×4, first 2 shown]
	s_delay_alu instid0(VALU_DEP_3) | instskip(NEXT) | instid1(VALU_DEP_2)
	v_cmp_eq_u64_e32 vcc_lo, s[4:5], v[6:7]
	v_cmp_eq_u64_e64 s0, s[6:7], v[8:9]
	s_delay_alu instid0(VALU_DEP_1) | instskip(NEXT) | instid1(SALU_CYCLE_1)
	s_and_b32 s0, vcc_lo, s0
	s_and_saveexec_b32 s0, s0
	buffer_store_b128 v[80:83], v20, s[4:7], 0 offen
                                        ; implicit-def: $vgpr80_vgpr81_vgpr82_vgpr83
                                        ; implicit-def: $vgpr20
	s_xor_b32 exec_lo, exec_lo, s0
	s_cbranch_execnz .LBB9_63
; %bb.64:
	s_mov_b32 exec_lo, s1
	s_clause 0x2
	flat_load_b32 v20, v[14:15] offset:12
	flat_load_b32 v21, v[14:15] offset:32
	;; [unrolled: 1-line block ×3, first 2 shown]
	s_mov_b32 s1, exec_lo
	s_waitcnt vmcnt(2) lgkmcnt(2)
	v_lshlrev_b32_e32 v20, 6, v20
	s_waitcnt vmcnt(1) lgkmcnt(1)
	v_cmp_gt_i32_e32 vcc_lo, v21, v38
	s_waitcnt vmcnt(0) lgkmcnt(0)
	v_cmp_gt_i32_e64 s0, v26, v165
	v_sub_nc_u32_e32 v4, v4, v20
	s_delay_alu instid0(VALU_DEP_2) | instskip(NEXT) | instid1(SALU_CYCLE_1)
	s_and_b32 s0, s0, vcc_lo
	v_cndmask_b32_e64 v20, 0x80000000, 0, s0
	s_delay_alu instid0(VALU_DEP_1)
	v_lshl_add_u32 v20, v4, 2, v20
.LBB9_65:                               ; =>This Inner Loop Header: Depth=1
	v_readfirstlane_b32 s4, v6
	v_readfirstlane_b32 s5, v7
	;; [unrolled: 1-line block ×4, first 2 shown]
	s_delay_alu instid0(VALU_DEP_3) | instskip(NEXT) | instid1(VALU_DEP_2)
	v_cmp_eq_u64_e32 vcc_lo, s[4:5], v[6:7]
	v_cmp_eq_u64_e64 s0, s[6:7], v[8:9]
	s_delay_alu instid0(VALU_DEP_1) | instskip(NEXT) | instid1(SALU_CYCLE_1)
	s_and_b32 s0, vcc_lo, s0
	s_and_saveexec_b32 s0, s0
	buffer_store_b128 v[22:25], v20, s[4:7], 0 offen
                                        ; implicit-def: $vgpr22_vgpr23_vgpr24_vgpr25
                                        ; implicit-def: $vgpr20
	s_xor_b32 exec_lo, exec_lo, s0
	s_cbranch_execnz .LBB9_65
; %bb.66:
	s_mov_b32 exec_lo, s1
	s_clause 0x2
	flat_load_b32 v20, v[14:15] offset:32
	flat_load_b32 v21, v[14:15] offset:20
	;; [unrolled: 1-line block ×3, first 2 shown]
	s_mov_b32 s1, exec_lo
	s_waitcnt vmcnt(2) lgkmcnt(2)
	v_cmp_gt_i32_e32 vcc_lo, v20, v38
	s_waitcnt vmcnt(1) lgkmcnt(1)
	v_cmp_gt_i32_e64 s0, v21, v149
	s_waitcnt vmcnt(0) lgkmcnt(0)
	v_add_nc_u32_e32 v4, v22, v4
	s_delay_alu instid0(VALU_DEP_2) | instskip(NEXT) | instid1(SALU_CYCLE_1)
	s_and_b32 s0, s0, vcc_lo
	v_cndmask_b32_e64 v20, 0x80000000, 0, s0
	s_delay_alu instid0(VALU_DEP_1)
	v_lshl_add_u32 v20, v4, 2, v20
.LBB9_67:                               ; =>This Inner Loop Header: Depth=1
	v_readfirstlane_b32 s4, v6
	v_readfirstlane_b32 s5, v7
	;; [unrolled: 1-line block ×4, first 2 shown]
	s_delay_alu instid0(VALU_DEP_3) | instskip(NEXT) | instid1(VALU_DEP_2)
	v_cmp_eq_u64_e32 vcc_lo, s[4:5], v[6:7]
	v_cmp_eq_u64_e64 s0, s[6:7], v[8:9]
	s_delay_alu instid0(VALU_DEP_1) | instskip(NEXT) | instid1(SALU_CYCLE_1)
	s_and_b32 s0, vcc_lo, s0
	s_and_saveexec_b32 s0, s0
	buffer_store_b128 v[52:55], v20, s[4:7], 0 offen
                                        ; implicit-def: $vgpr52_vgpr53_vgpr54_vgpr55
                                        ; implicit-def: $vgpr20
	s_xor_b32 exec_lo, exec_lo, s0
	s_cbranch_execnz .LBB9_67
; %bb.68:
	s_mov_b32 exec_lo, s1
	s_clause 0x2
	flat_load_b32 v20, v[14:15] offset:32
	flat_load_b32 v21, v[14:15] offset:20
	;; [unrolled: 1-line block ×3, first 2 shown]
	s_mov_b32 s1, exec_lo
	s_waitcnt vmcnt(2) lgkmcnt(2)
	v_cmp_gt_i32_e32 vcc_lo, v20, v177
	s_waitcnt vmcnt(1) lgkmcnt(1)
	v_cmp_gt_i32_e64 s0, v21, v149
	s_waitcnt vmcnt(0) lgkmcnt(0)
	v_lshl_add_u32 v4, v22, 6, v4
	s_delay_alu instid0(VALU_DEP_2) | instskip(NEXT) | instid1(SALU_CYCLE_1)
	s_and_b32 s0, s0, vcc_lo
	v_cndmask_b32_e64 v20, 0x80000000, 0, s0
	s_delay_alu instid0(VALU_DEP_1)
	v_lshl_add_u32 v20, v4, 2, v20
.LBB9_69:                               ; =>This Inner Loop Header: Depth=1
	v_readfirstlane_b32 s4, v6
	v_readfirstlane_b32 s5, v7
	;; [unrolled: 1-line block ×4, first 2 shown]
	s_delay_alu instid0(VALU_DEP_3) | instskip(NEXT) | instid1(VALU_DEP_2)
	v_cmp_eq_u64_e32 vcc_lo, s[4:5], v[6:7]
	v_cmp_eq_u64_e64 s0, s[6:7], v[8:9]
	s_delay_alu instid0(VALU_DEP_1) | instskip(NEXT) | instid1(SALU_CYCLE_1)
	s_and_b32 s0, vcc_lo, s0
	s_and_saveexec_b32 s0, s0
	buffer_store_b128 v[68:71], v20, s[4:7], 0 offen
                                        ; implicit-def: $vgpr68_vgpr69_vgpr70_vgpr71
                                        ; implicit-def: $vgpr20
	s_xor_b32 exec_lo, exec_lo, s0
	s_cbranch_execnz .LBB9_69
; %bb.70:
	s_mov_b32 exec_lo, s1
	s_clause 0x2
	flat_load_b32 v20, v[14:15] offset:32
	flat_load_b32 v21, v[14:15] offset:20
	;; [unrolled: 1-line block ×3, first 2 shown]
	s_mov_b32 s1, exec_lo
	s_waitcnt vmcnt(2) lgkmcnt(2)
	v_cmp_gt_i32_e32 vcc_lo, v20, v177
	s_waitcnt vmcnt(1) lgkmcnt(1)
	v_cmp_gt_i32_e64 s0, v21, v147
	s_waitcnt vmcnt(0) lgkmcnt(0)
	v_add_nc_u32_e32 v4, v22, v4
	s_delay_alu instid0(VALU_DEP_2) | instskip(NEXT) | instid1(SALU_CYCLE_1)
	s_and_b32 s0, s0, vcc_lo
	v_cndmask_b32_e64 v20, 0x80000000, 0, s0
	s_delay_alu instid0(VALU_DEP_1)
	v_lshl_add_u32 v20, v4, 2, v20
.LBB9_71:                               ; =>This Inner Loop Header: Depth=1
	v_readfirstlane_b32 s4, v6
	v_readfirstlane_b32 s5, v7
	;; [unrolled: 1-line block ×4, first 2 shown]
	s_delay_alu instid0(VALU_DEP_3) | instskip(NEXT) | instid1(VALU_DEP_2)
	v_cmp_eq_u64_e32 vcc_lo, s[4:5], v[6:7]
	v_cmp_eq_u64_e64 s0, s[6:7], v[8:9]
	s_delay_alu instid0(VALU_DEP_1) | instskip(NEXT) | instid1(SALU_CYCLE_1)
	s_and_b32 s0, vcc_lo, s0
	s_and_saveexec_b32 s0, s0
	buffer_store_b128 v[84:87], v20, s[4:7], 0 offen
                                        ; implicit-def: $vgpr84_vgpr85_vgpr86_vgpr87
                                        ; implicit-def: $vgpr20
	s_xor_b32 exec_lo, exec_lo, s0
	s_cbranch_execnz .LBB9_71
; %bb.72:
	s_mov_b32 exec_lo, s1
	s_clause 0x2
	flat_load_b32 v20, v[14:15] offset:12
	flat_load_b32 v21, v[14:15] offset:32
	;; [unrolled: 1-line block ×3, first 2 shown]
	s_mov_b32 s1, exec_lo
	s_waitcnt vmcnt(2) lgkmcnt(2)
	v_lshlrev_b32_e32 v20, 6, v20
	s_waitcnt vmcnt(1) lgkmcnt(1)
	v_cmp_gt_i32_e32 vcc_lo, v21, v38
	s_waitcnt vmcnt(0) lgkmcnt(0)
	v_cmp_gt_i32_e64 s0, v22, v147
	v_sub_nc_u32_e32 v4, v4, v20
	s_delay_alu instid0(VALU_DEP_2) | instskip(NEXT) | instid1(SALU_CYCLE_1)
	s_and_b32 s0, s0, vcc_lo
	v_cndmask_b32_e64 v21, 0x80000000, 0, s0
	s_delay_alu instid0(VALU_DEP_2) | instskip(NEXT) | instid1(VALU_DEP_1)
	v_lshlrev_b32_e32 v20, 2, v4
	v_add_nc_u32_e32 v21, v21, v20
.LBB9_73:                               ; =>This Inner Loop Header: Depth=1
	v_readfirstlane_b32 s4, v6
	v_readfirstlane_b32 s5, v7
	;; [unrolled: 1-line block ×4, first 2 shown]
	s_delay_alu instid0(VALU_DEP_3) | instskip(NEXT) | instid1(VALU_DEP_2)
	v_cmp_eq_u64_e32 vcc_lo, s[4:5], v[6:7]
	v_cmp_eq_u64_e64 s0, s[6:7], v[8:9]
	s_delay_alu instid0(VALU_DEP_1) | instskip(NEXT) | instid1(SALU_CYCLE_1)
	s_and_b32 s0, vcc_lo, s0
	s_and_saveexec_b32 s0, s0
	buffer_store_b128 v[34:37], v21, s[4:7], 0 offen
                                        ; implicit-def: $vgpr34_vgpr35_vgpr36_vgpr37
                                        ; implicit-def: $vgpr21
	s_xor_b32 exec_lo, exec_lo, s0
	s_cbranch_execnz .LBB9_73
; %bb.74:
	s_mov_b32 exec_lo, s1
	s_clause 0x2
	flat_load_b32 v22, v[14:15] offset:32
	flat_load_b32 v23, v[14:15] offset:20
	;; [unrolled: 1-line block ×3, first 2 shown]
	s_mov_b32 s1, exec_lo
	s_waitcnt vmcnt(2) lgkmcnt(2)
	v_cmp_gt_i32_e32 vcc_lo, v22, v38
	s_waitcnt vmcnt(1) lgkmcnt(1)
	v_cmp_gt_i32_e64 s0, v23, v132
	s_waitcnt vmcnt(0) lgkmcnt(0)
	v_lshlrev_b32_e32 v22, 8, v21
	s_delay_alu instid0(VALU_DEP_2) | instskip(NEXT) | instid1(SALU_CYCLE_1)
	s_and_b32 s0, s0, vcc_lo
	v_cndmask_b32_e64 v23, 0x80000000, 0, s0
	s_delay_alu instid0(VALU_DEP_1)
	v_add3_u32 v20, v22, v20, v23
.LBB9_75:                               ; =>This Inner Loop Header: Depth=1
	v_readfirstlane_b32 s4, v6
	v_readfirstlane_b32 s5, v7
	;; [unrolled: 1-line block ×4, first 2 shown]
	s_delay_alu instid0(VALU_DEP_3) | instskip(NEXT) | instid1(VALU_DEP_2)
	v_cmp_eq_u64_e32 vcc_lo, s[4:5], v[6:7]
	v_cmp_eq_u64_e64 s0, s[6:7], v[8:9]
	s_delay_alu instid0(VALU_DEP_1) | instskip(NEXT) | instid1(SALU_CYCLE_1)
	s_and_b32 s0, vcc_lo, s0
	s_and_saveexec_b32 s0, s0
	buffer_store_b128 v[112:115], v20, s[4:7], 0 offen
                                        ; implicit-def: $vgpr112_vgpr113_vgpr114_vgpr115
                                        ; implicit-def: $vgpr20
	s_xor_b32 exec_lo, exec_lo, s0
	s_cbranch_execnz .LBB9_75
; %bb.76:
	s_mov_b32 exec_lo, s1
	s_clause 0x2
	flat_load_b32 v20, v[14:15] offset:12
	flat_load_b32 v22, v[14:15] offset:32
	;; [unrolled: 1-line block ×3, first 2 shown]
	s_mov_b32 s1, exec_lo
	s_waitcnt vmcnt(2) lgkmcnt(2)
	v_add_nc_u32_e32 v20, v20, v21
	s_waitcnt vmcnt(1) lgkmcnt(1)
	v_cmp_gt_i32_e32 vcc_lo, v22, v177
	s_waitcnt vmcnt(0) lgkmcnt(0)
	v_cmp_gt_i32_e64 s0, v23, v132
	v_lshl_add_u32 v4, v20, 6, v4
	s_delay_alu instid0(VALU_DEP_2) | instskip(NEXT) | instid1(SALU_CYCLE_1)
	s_and_b32 s0, s0, vcc_lo
	v_cndmask_b32_e64 v20, 0x80000000, 0, s0
	s_delay_alu instid0(VALU_DEP_1)
	v_lshl_add_u32 v20, v4, 2, v20
.LBB9_77:                               ; =>This Inner Loop Header: Depth=1
	v_readfirstlane_b32 s4, v6
	v_readfirstlane_b32 s5, v7
	;; [unrolled: 1-line block ×4, first 2 shown]
	s_delay_alu instid0(VALU_DEP_3) | instskip(NEXT) | instid1(VALU_DEP_2)
	v_cmp_eq_u64_e32 vcc_lo, s[4:5], v[6:7]
	v_cmp_eq_u64_e64 s0, s[6:7], v[8:9]
	s_delay_alu instid0(VALU_DEP_1) | instskip(NEXT) | instid1(SALU_CYCLE_1)
	s_and_b32 s0, vcc_lo, s0
	s_and_saveexec_b32 s0, s0
	buffer_store_b128 v[16:19], v20, s[4:7], 0 offen
                                        ; implicit-def: $vgpr16_vgpr17_vgpr18_vgpr19
                                        ; implicit-def: $vgpr20
	s_xor_b32 exec_lo, exec_lo, s0
	s_cbranch_execnz .LBB9_77
; %bb.78:
	s_mov_b32 exec_lo, s1
	s_clause 0x2
	flat_load_b32 v16, v[14:15] offset:32
	flat_load_b32 v17, v[14:15] offset:20
	;; [unrolled: 1-line block ×3, first 2 shown]
	s_mov_b32 s1, exec_lo
	s_waitcnt vmcnt(2) lgkmcnt(2)
	v_cmp_gt_i32_e32 vcc_lo, v16, v177
	s_waitcnt vmcnt(1) lgkmcnt(1)
	v_cmp_ge_i32_e64 s0, v17, v132
	s_waitcnt vmcnt(0) lgkmcnt(0)
	v_sub_nc_u32_e32 v4, v4, v18
	s_delay_alu instid0(VALU_DEP_2) | instskip(NEXT) | instid1(SALU_CYCLE_1)
	s_and_b32 s0, s0, vcc_lo
	v_cndmask_b32_e64 v16, 0x80000000, 0, s0
	s_delay_alu instid0(VALU_DEP_1)
	v_lshl_add_u32 v16, v4, 2, v16
.LBB9_79:                               ; =>This Inner Loop Header: Depth=1
	v_readfirstlane_b32 s4, v6
	v_readfirstlane_b32 s5, v7
	;; [unrolled: 1-line block ×4, first 2 shown]
	s_delay_alu instid0(VALU_DEP_3) | instskip(NEXT) | instid1(VALU_DEP_2)
	v_cmp_eq_u64_e32 vcc_lo, s[4:5], v[6:7]
	v_cmp_eq_u64_e64 s0, s[6:7], v[8:9]
	s_delay_alu instid0(VALU_DEP_1) | instskip(NEXT) | instid1(SALU_CYCLE_1)
	s_and_b32 s0, vcc_lo, s0
	s_and_saveexec_b32 s0, s0
	buffer_store_b128 v[100:103], v16, s[4:7], 0 offen
                                        ; implicit-def: $vgpr100_vgpr101_vgpr102_vgpr103
                                        ; implicit-def: $vgpr16
	s_xor_b32 exec_lo, exec_lo, s0
	s_cbranch_execnz .LBB9_79
; %bb.80:
	s_mov_b32 exec_lo, s1
	s_clause 0x2
	flat_load_b32 v16, v[14:15] offset:12
	flat_load_b32 v17, v[14:15] offset:32
	;; [unrolled: 1-line block ×3, first 2 shown]
	s_mov_b32 s1, exec_lo
	s_waitcnt vmcnt(2) lgkmcnt(2)
	v_lshlrev_b32_e32 v16, 6, v16
	s_waitcnt vmcnt(1) lgkmcnt(1)
	v_cmp_gt_i32_e32 vcc_lo, v17, v38
	s_waitcnt vmcnt(0) lgkmcnt(0)
	v_cmp_gt_i32_e64 s0, v18, v131
	v_sub_nc_u32_e32 v4, v4, v16
	s_delay_alu instid0(VALU_DEP_2) | instskip(NEXT) | instid1(SALU_CYCLE_1)
	s_and_b32 s0, s0, vcc_lo
	v_cndmask_b32_e64 v16, 0x80000000, 0, s0
	s_delay_alu instid0(VALU_DEP_1)
	v_lshl_add_u32 v16, v4, 2, v16
.LBB9_81:                               ; =>This Inner Loop Header: Depth=1
	v_readfirstlane_b32 s4, v6
	v_readfirstlane_b32 s5, v7
	;; [unrolled: 1-line block ×4, first 2 shown]
	s_delay_alu instid0(VALU_DEP_3) | instskip(NEXT) | instid1(VALU_DEP_2)
	v_cmp_eq_u64_e32 vcc_lo, s[4:5], v[6:7]
	v_cmp_eq_u64_e64 s0, s[6:7], v[8:9]
	s_delay_alu instid0(VALU_DEP_1) | instskip(NEXT) | instid1(SALU_CYCLE_1)
	s_and_b32 s0, vcc_lo, s0
	s_and_saveexec_b32 s0, s0
	buffer_store_b128 v[96:99], v16, s[4:7], 0 offen
                                        ; implicit-def: $vgpr96_vgpr97_vgpr98_vgpr99
                                        ; implicit-def: $vgpr16
	s_xor_b32 exec_lo, exec_lo, s0
	s_cbranch_execnz .LBB9_81
; %bb.82:
	s_mov_b32 exec_lo, s1
	s_clause 0x2
	flat_load_b32 v16, v[14:15] offset:32
	flat_load_b32 v17, v[14:15] offset:20
	;; [unrolled: 1-line block ×3, first 2 shown]
	s_mov_b32 s1, exec_lo
	s_waitcnt vmcnt(2) lgkmcnt(2)
	v_cmp_gt_i32_e32 vcc_lo, v16, v38
	s_waitcnt vmcnt(1) lgkmcnt(1)
	v_cmp_ge_i32_e64 s0, v17, v131
	s_waitcnt vmcnt(0) lgkmcnt(0)
	v_sub_nc_u32_e32 v4, v4, v18
	s_delay_alu instid0(VALU_DEP_2) | instskip(NEXT) | instid1(SALU_CYCLE_1)
	s_and_b32 s0, s0, vcc_lo
	v_cndmask_b32_e64 v16, 0x80000000, 0, s0
	s_delay_alu instid0(VALU_DEP_1)
	v_lshl_add_u32 v16, v4, 2, v16
.LBB9_83:                               ; =>This Inner Loop Header: Depth=1
	v_readfirstlane_b32 s4, v6
	v_readfirstlane_b32 s5, v7
	v_readfirstlane_b32 s6, v8
	v_readfirstlane_b32 s7, v9
	s_delay_alu instid0(VALU_DEP_3) | instskip(NEXT) | instid1(VALU_DEP_2)
	v_cmp_eq_u64_e32 vcc_lo, s[4:5], v[6:7]
	v_cmp_eq_u64_e64 s0, s[6:7], v[8:9]
	s_delay_alu instid0(VALU_DEP_1) | instskip(NEXT) | instid1(SALU_CYCLE_1)
	s_and_b32 s0, vcc_lo, s0
	s_and_saveexec_b32 s0, s0
	buffer_store_b128 v[48:51], v16, s[4:7], 0 offen
                                        ; implicit-def: $vgpr48_vgpr49_vgpr50_vgpr51
                                        ; implicit-def: $vgpr16
	s_xor_b32 exec_lo, exec_lo, s0
	s_cbranch_execnz .LBB9_83
; %bb.84:
	s_mov_b32 exec_lo, s1
	s_clause 0x2
	flat_load_b32 v16, v[14:15] offset:32
	flat_load_b32 v17, v[14:15] offset:20
	;; [unrolled: 1-line block ×3, first 2 shown]
	s_mov_b32 s1, exec_lo
	s_waitcnt vmcnt(2) lgkmcnt(2)
	v_cmp_gt_i32_e32 vcc_lo, v16, v177
	s_waitcnt vmcnt(1) lgkmcnt(1)
	v_cmp_gt_i32_e64 s0, v17, v5
	s_waitcnt vmcnt(0) lgkmcnt(0)
	v_lshl_add_u32 v4, v18, 6, v4
	s_delay_alu instid0(VALU_DEP_2) | instskip(NEXT) | instid1(SALU_CYCLE_1)
	s_and_b32 s0, s0, vcc_lo
	v_cndmask_b32_e64 v16, 0x80000000, 0, s0
	s_delay_alu instid0(VALU_DEP_1)
	v_lshl_add_u32 v16, v4, 2, v16
.LBB9_85:                               ; =>This Inner Loop Header: Depth=1
	v_readfirstlane_b32 s4, v6
	v_readfirstlane_b32 s5, v7
	;; [unrolled: 1-line block ×4, first 2 shown]
	s_delay_alu instid0(VALU_DEP_3) | instskip(NEXT) | instid1(VALU_DEP_2)
	v_cmp_eq_u64_e32 vcc_lo, s[4:5], v[6:7]
	v_cmp_eq_u64_e64 s0, s[6:7], v[8:9]
	s_delay_alu instid0(VALU_DEP_1) | instskip(NEXT) | instid1(SALU_CYCLE_1)
	s_and_b32 s0, vcc_lo, s0
	s_and_saveexec_b32 s0, s0
	buffer_store_b128 v[64:67], v16, s[4:7], 0 offen
                                        ; implicit-def: $vgpr64_vgpr65_vgpr66_vgpr67
                                        ; implicit-def: $vgpr16
	s_xor_b32 exec_lo, exec_lo, s0
	s_cbranch_execnz .LBB9_85
; %bb.86:
	s_mov_b32 exec_lo, s1
	s_clause 0x2
	flat_load_b32 v16, v[14:15] offset:8
	flat_load_b32 v17, v[14:15] offset:32
	;; [unrolled: 1-line block ×3, first 2 shown]
	s_mov_b32 s1, exec_lo
	s_waitcnt vmcnt(2) lgkmcnt(2)
	v_sub_nc_u32_e32 v4, v4, v16
	s_waitcnt vmcnt(1) lgkmcnt(1)
	v_cmp_gt_i32_e32 vcc_lo, v17, v177
	s_waitcnt vmcnt(0) lgkmcnt(0)
	v_cmp_ge_i32_e64 s0, v18, v5
	v_lshlrev_b32_e32 v4, 2, v4
	s_delay_alu instid0(VALU_DEP_2) | instskip(NEXT) | instid1(SALU_CYCLE_1)
	s_and_b32 s0, s0, vcc_lo
	v_cndmask_b32_e64 v5, 0x80000000, 0, s0
	s_delay_alu instid0(VALU_DEP_1)
	v_add_nc_u32_e32 v5, v5, v4
.LBB9_87:                               ; =>This Inner Loop Header: Depth=1
	v_readfirstlane_b32 s4, v6
	v_readfirstlane_b32 s5, v7
	;; [unrolled: 1-line block ×4, first 2 shown]
	s_delay_alu instid0(VALU_DEP_3) | instskip(NEXT) | instid1(VALU_DEP_2)
	v_cmp_eq_u64_e32 vcc_lo, s[4:5], v[6:7]
	v_cmp_eq_u64_e64 s0, s[6:7], v[8:9]
	s_delay_alu instid0(VALU_DEP_1) | instskip(NEXT) | instid1(SALU_CYCLE_1)
	s_and_b32 s0, vcc_lo, s0
	s_and_saveexec_b32 s0, s0
	buffer_store_b128 v[10:13], v5, s[4:7], 0 offen
                                        ; implicit-def: $vgpr10_vgpr11_vgpr12_vgpr13
                                        ; implicit-def: $vgpr5
	s_xor_b32 exec_lo, exec_lo, s0
	s_cbranch_execnz .LBB9_87
; %bb.88:
	s_mov_b32 exec_lo, s1
	s_clause 0x2
	flat_load_b32 v5, v[14:15] offset:32
	flat_load_b32 v10, v[14:15] offset:12
	;; [unrolled: 1-line block ×3, first 2 shown]
	s_mov_b32 s1, exec_lo
	s_waitcnt vmcnt(2) lgkmcnt(2)
	v_cmp_gt_i32_e32 vcc_lo, v5, v38
	s_waitcnt vmcnt(1) lgkmcnt(1)
	v_lshlrev_b32_e32 v5, 8, v10
	s_waitcnt vmcnt(0) lgkmcnt(0)
	v_cmp_gt_i32_e64 s0, v11, v135
	s_delay_alu instid0(VALU_DEP_2) | instskip(NEXT) | instid1(VALU_DEP_2)
	v_sub_nc_u32_e32 v4, v4, v5
	s_and_b32 s0, s0, vcc_lo
	s_delay_alu instid0(SALU_CYCLE_1) | instskip(NEXT) | instid1(VALU_DEP_1)
	v_cndmask_b32_e64 v5, 0x80000000, 0, s0
	v_add_nc_u32_e32 v4, v4, v5
.LBB9_89:                               ; =>This Inner Loop Header: Depth=1
	v_readfirstlane_b32 s4, v6
	v_readfirstlane_b32 s5, v7
	;; [unrolled: 1-line block ×4, first 2 shown]
	s_delay_alu instid0(VALU_DEP_3) | instskip(NEXT) | instid1(VALU_DEP_2)
	v_cmp_eq_u64_e32 vcc_lo, s[4:5], v[6:7]
	v_cmp_eq_u64_e64 s0, s[6:7], v[8:9]
	s_delay_alu instid0(VALU_DEP_1) | instskip(NEXT) | instid1(SALU_CYCLE_1)
	s_and_b32 s0, vcc_lo, s0
	s_and_saveexec_b32 s0, s0
	buffer_store_b128 v[0:3], v4, s[4:7], 0 offen
                                        ; implicit-def: $vgpr6_vgpr7_vgpr8_vgpr9
                                        ; implicit-def: $vgpr0_vgpr1_vgpr2_vgpr3
                                        ; implicit-def: $vgpr4
	s_xor_b32 exec_lo, exec_lo, s0
	s_cbranch_execnz .LBB9_89
; %bb.90:
	s_mov_b32 exec_lo, s1
	s_setpc_b64 s[30:31]
.Lfunc_end9:
	.size	_ZN2ck32GridwiseGemmDlMultipleD_km_kn_mnILi256EffNS_5TupleIJfEEEfNS_16tensor_operation12element_wise11PassThroughES5_NS4_7AddReluELNS_25InMemoryDataOperationEnumE0ENS_16TensorDescriptorINS1_IJNS_5EmbedINS1_IJiiiiEEESA_Lb0EEENS_11PassThroughIiEENS_3PadIiiiLb0EEESF_SD_SD_NS9_INS1_IJiiEEESG_Lb0EEESH_SD_NS_23Merge_v2_magic_divisionINS1_IJiiiEEEEESK_NS_8RightPadIiiLb0EEESM_NS_7UnMergeISG_Lb0EEESD_EEENS1_IJNS_8SequenceIJLi0EEEENSQ_IJLi1EEEENSQ_IJLi2EEEENSQ_IJLi3EEEENSQ_IJLi4EEEENSQ_IJLi5EEEENSQ_IJLi6EEEENSQ_IJLi7EEEENSQ_IJLi8EEEENSQ_IJLi9ELi11ELi13EEEENSQ_IJLi10ELi12ELi14EEEENSQ_IJLi15EEEENSQ_IJLi16EEEENSQ_IJLi18EEEENSQ_IJLi17EEEEEEENS1_IJNSQ_IJLi1ELi2ELi3ELi4EEEESW_SX_SY_SZ_NSQ_IJLi9EEEENSQ_IJLi10ELi11EEEENSQ_IJLi12ELi13EEEENSQ_IJLi14EEEES12_S13_S15_S14_NSQ_IJLi19ELi20EEEENSQ_IJLi21EEEEEEENSQ_IJLi19ELi21ELi20EEEElEENS8_INS1_IJSO_SM_SM_SO_SD_EEENS1_IJSR_SS_ST_SV_SU_EEENS1_IJNSQ_IJLi1ELi2EEEESU_SV_NSQ_IJLi5ELi6EEEESY_EEENSQ_IJLi5ELi7ELi6EEEElEENS8_INS1_IJSH_SM_SM_EEENS1_IJSR_SS_ST_EEENS1_IJS1J_SU_SV_EEENSQ_IJLi3ELi4EEEElEELi128ELi128ELi16ELi1ELi4ELi4ELi1ENSQ_IJLi8ELi2EEEES1T_NSQ_IJLi8ELi1ELi1ELi1EEEENSQ_IJLi2ELi1ELi128ELi1EEEENSQ_IJLi1ELi2ELi0ELi3EEEES1W_NSQ_IJLi4ELi1ELi1ELi1EEEES1W_NSQ_IJLi1ELi1ELi1ELi1EEEES1U_S1V_S1W_S1W_S1X_S1W_S1Y_NSQ_IJLi0ELi1ELi2ELi3ELi4ELi5EEEELi5ELi4EE3RunINS1_IJNS8_INS1_IJSH_SM_SM_NSN_INS1_IJiNS_17integral_constantIiLi2EEENS22_IiLi64EEEEEELb0EEES26_EEENS1_IJSR_SS_ST_SU_SV_EEENS1_IJS1J_SU_SV_NSQ_IJLi5ELi6ELi7EEEENSQ_IJLi8ELi9ELi10EEEEEEENSQ_IJLi5ELi6ELi7ELi8ELi9ELi10EEEElEEEEELb1ELb0ENS_31BlockToCTileMap_M00_N00_M01_N01ILi128ELi128ES1S_Lb0EEEEEvPKfS2I_NS1_IJS2I_EEEPfPvRKS5_S2N_RKS6_RKNS8_INS1_IJSB_SD_SF_SF_SD_SD_SH_SH_SD_SK_SK_SM_SM_SO_SD_SD_NSN_INS1_IJiNS22_IiLi128EEEEEELb0EEENSC_INS22_IiLi1EEEEEEEENS1_IJSR_SS_ST_SU_SV_SW_SX_SY_SZ_S10_S11_S12_S13_S14_S15_NSQ_IJLi19EEEES1D_NSQ_IJLi20EEEEEEENS1_IJS17_SW_SX_SY_SZ_S18_S19_S1A_S1B_S12_S13_S15_S14_S1C_S1D_NSQ_IJLi22EEEENSQ_IJLi23ELi24EEEENSQ_IJLi25EEEEEEENSQ_IJLi22ELi23ELi24ELi25EEEElEERKNS8_INS1_IJSO_SM_SM_SO_SD_SD_S2S_S2U_EEENS1_IJSR_SS_ST_SV_SU_SW_SY_SX_EEENS1_IJS1J_SU_SV_S1K_SY_SZ_NSQ_IJLi9ELi10EEEENSQ_IJLi11EEEEEEENSQ_IJLi8ELi9ELi10ELi11EEEElEERKT_RKS2D_RKT2_NS22_IbXT0_EEENS22_IbXT1_EEE, .Lfunc_end9-_ZN2ck32GridwiseGemmDlMultipleD_km_kn_mnILi256EffNS_5TupleIJfEEEfNS_16tensor_operation12element_wise11PassThroughES5_NS4_7AddReluELNS_25InMemoryDataOperationEnumE0ENS_16TensorDescriptorINS1_IJNS_5EmbedINS1_IJiiiiEEESA_Lb0EEENS_11PassThroughIiEENS_3PadIiiiLb0EEESF_SD_SD_NS9_INS1_IJiiEEESG_Lb0EEESH_SD_NS_23Merge_v2_magic_divisionINS1_IJiiiEEEEESK_NS_8RightPadIiiLb0EEESM_NS_7UnMergeISG_Lb0EEESD_EEENS1_IJNS_8SequenceIJLi0EEEENSQ_IJLi1EEEENSQ_IJLi2EEEENSQ_IJLi3EEEENSQ_IJLi4EEEENSQ_IJLi5EEEENSQ_IJLi6EEEENSQ_IJLi7EEEENSQ_IJLi8EEEENSQ_IJLi9ELi11ELi13EEEENSQ_IJLi10ELi12ELi14EEEENSQ_IJLi15EEEENSQ_IJLi16EEEENSQ_IJLi18EEEENSQ_IJLi17EEEEEEENS1_IJNSQ_IJLi1ELi2ELi3ELi4EEEESW_SX_SY_SZ_NSQ_IJLi9EEEENSQ_IJLi10ELi11EEEENSQ_IJLi12ELi13EEEENSQ_IJLi14EEEES12_S13_S15_S14_NSQ_IJLi19ELi20EEEENSQ_IJLi21EEEEEEENSQ_IJLi19ELi21ELi20EEEElEENS8_INS1_IJSO_SM_SM_SO_SD_EEENS1_IJSR_SS_ST_SV_SU_EEENS1_IJNSQ_IJLi1ELi2EEEESU_SV_NSQ_IJLi5ELi6EEEESY_EEENSQ_IJLi5ELi7ELi6EEEElEENS8_INS1_IJSH_SM_SM_EEENS1_IJSR_SS_ST_EEENS1_IJS1J_SU_SV_EEENSQ_IJLi3ELi4EEEElEELi128ELi128ELi16ELi1ELi4ELi4ELi1ENSQ_IJLi8ELi2EEEES1T_NSQ_IJLi8ELi1ELi1ELi1EEEENSQ_IJLi2ELi1ELi128ELi1EEEENSQ_IJLi1ELi2ELi0ELi3EEEES1W_NSQ_IJLi4ELi1ELi1ELi1EEEES1W_NSQ_IJLi1ELi1ELi1ELi1EEEES1U_S1V_S1W_S1W_S1X_S1W_S1Y_NSQ_IJLi0ELi1ELi2ELi3ELi4ELi5EEEELi5ELi4EE3RunINS1_IJNS8_INS1_IJSH_SM_SM_NSN_INS1_IJiNS_17integral_constantIiLi2EEENS22_IiLi64EEEEEELb0EEES26_EEENS1_IJSR_SS_ST_SU_SV_EEENS1_IJS1J_SU_SV_NSQ_IJLi5ELi6ELi7EEEENSQ_IJLi8ELi9ELi10EEEEEEENSQ_IJLi5ELi6ELi7ELi8ELi9ELi10EEEElEEEEELb1ELb0ENS_31BlockToCTileMap_M00_N00_M01_N01ILi128ELi128ES1S_Lb0EEEEEvPKfS2I_NS1_IJS2I_EEEPfPvRKS5_S2N_RKS6_RKNS8_INS1_IJSB_SD_SF_SF_SD_SD_SH_SH_SD_SK_SK_SM_SM_SO_SD_SD_NSN_INS1_IJiNS22_IiLi128EEEEEELb0EEENSC_INS22_IiLi1EEEEEEEENS1_IJSR_SS_ST_SU_SV_SW_SX_SY_SZ_S10_S11_S12_S13_S14_S15_NSQ_IJLi19EEEES1D_NSQ_IJLi20EEEEEEENS1_IJS17_SW_SX_SY_SZ_S18_S19_S1A_S1B_S12_S13_S15_S14_S1C_S1D_NSQ_IJLi22EEEENSQ_IJLi23ELi24EEEENSQ_IJLi25EEEEEEENSQ_IJLi22ELi23ELi24ELi25EEEElEERKNS8_INS1_IJSO_SM_SM_SO_SD_SD_S2S_S2U_EEENS1_IJSR_SS_ST_SV_SU_SW_SY_SX_EEENS1_IJS1J_SU_SV_S1K_SY_SZ_NSQ_IJLi9ELi10EEEENSQ_IJLi11EEEEEEENSQ_IJLi8ELi9ELi10ELi11EEEElEERKT_RKS2D_RKT2_NS22_IbXT0_EEENS22_IbXT1_EEE
                                        ; -- End function
	.section	.AMDGPU.csdata,"",@progbits
; Function info:
; codeLenInByte = 73364
; NumSgprs: 34
; NumVgprs: 248
; ScratchSize: 0
; MemoryBound: 0
	.section	.text._ZN2ck16tensor_operation6device12_GLOBAL__N_137kernel_grouped_conv_fwd_dl_multiple_dINS_32GridwiseGemmDlMultipleD_km_kn_mnILi256EffNS_5TupleIJfEEEfNS0_12element_wise11PassThroughES8_NS7_7AddReluELNS_25InMemoryDataOperationEnumE0ENS_16TensorDescriptorINS5_IJNS_5EmbedINS5_IJiiiiEEESD_Lb0EEENS_11PassThroughIiEENS_3PadIiiiLb0EEESI_SG_SG_NSC_INS5_IJiiEEESJ_Lb0EEESK_SG_NS_23Merge_v2_magic_divisionINS5_IJiiiEEEEESN_NS_8RightPadIiiLb0EEESP_NS_7UnMergeISJ_Lb0EEESG_EEENS5_IJNS_8SequenceIJLi0EEEENST_IJLi1EEEENST_IJLi2EEEENST_IJLi3EEEENST_IJLi4EEEENST_IJLi5EEEENST_IJLi6EEEENST_IJLi7EEEENST_IJLi8EEEENST_IJLi9ELi11ELi13EEEENST_IJLi10ELi12ELi14EEEENST_IJLi15EEEENST_IJLi16EEEENST_IJLi18EEEENST_IJLi17EEEEEEENS5_IJNST_IJLi1ELi2ELi3ELi4EEEESZ_S10_S11_S12_NST_IJLi9EEEENST_IJLi10ELi11EEEENST_IJLi12ELi13EEEENST_IJLi14EEEES15_S16_S18_S17_NST_IJLi19ELi20EEEENST_IJLi21EEEEEEENST_IJLi19ELi21ELi20EEEElEENSB_INS5_IJSR_SP_SP_SR_SG_EEENS5_IJSU_SV_SW_SY_SX_EEENS5_IJNST_IJLi1ELi2EEEESX_SY_NST_IJLi5ELi6EEEES11_EEENST_IJLi5ELi7ELi6EEEElEENSB_INS5_IJSK_SP_SP_EEENS5_IJSU_SV_SW_EEENS5_IJS1M_SX_SY_EEENST_IJLi3ELi4EEEElEELi128ELi128ELi16ELi1ELi4ELi4ELi1ENST_IJLi8ELi2EEEES1W_NST_IJLi8ELi1ELi1ELi1EEEENST_IJLi2ELi1ELi128ELi1EEEENST_IJLi1ELi2ELi0ELi3EEEES1Z_NST_IJLi4ELi1ELi1ELi1EEEES1Z_NST_IJLi1ELi1ELi1ELi1EEEES1X_S1Y_S1Z_S1Z_S20_S1Z_S21_NST_IJLi0ELi1ELi2ELi3ELi4ELi5EEEELi5ELi4EEEfNS5_IJPKfEEEfS8_S8_S9_NSB_INS5_IJSE_SG_SI_SI_SG_SG_SK_SK_SG_SN_SN_SP_SP_SR_SG_SG_NSQ_INS5_IJiNS_17integral_constantIiLi128EEEEEELb0EEENSF_INS27_IiLi1EEEEEEEENS5_IJSU_SV_SW_SX_SY_SZ_S10_S11_S12_S13_S14_S15_S16_S17_S18_NST_IJLi19EEEES1G_NST_IJLi20EEEEEEENS5_IJS1A_SZ_S10_S11_S12_S1B_S1C_S1D_S1E_S15_S16_S18_S17_S1F_S1G_NST_IJLi22EEEENST_IJLi23ELi24EEEENST_IJLi25EEEEEEENST_IJLi22ELi23ELi24ELi25EEEElEENSB_INS5_IJSR_SP_SP_SR_SG_SG_S2A_S2C_EEENS5_IJSU_SV_SW_SY_SX_SZ_S11_S10_EEENS5_IJS1M_SX_SY_S1N_S11_S12_NST_IJLi9ELi10EEEENST_IJLi11EEEEEEENST_IJLi8ELi9ELi10ELi11EEEElEENS5_IJNSB_INS5_IJSK_SP_SP_NSQ_INS5_IJiNS27_IiLi2EEENS27_IiLi64EEEEEELb0EEES2X_EEENS5_IJSU_SV_SW_SX_SY_EEENS5_IJS1M_SX_SY_NST_IJLi5ELi6ELi7EEEENST_IJLi8ELi9ELi10EEEEEEENST_IJLi5ELi6ELi7ELi8ELi9ELi10EEEElEEEEES34_NS_31BlockToCTileMap_M00_N00_M01_N01ILi128ELi128ES1V_Lb0EEENS1_30ComputePtrOffsetOfStridedBatchILi1ELi1ELi1EvEELb1ELb0EEEvPKT0_S3C_T1_PT2_T3_T4_T5_iT6_T7_T8_T9_T10_T11_,"axG",@progbits,_ZN2ck16tensor_operation6device12_GLOBAL__N_137kernel_grouped_conv_fwd_dl_multiple_dINS_32GridwiseGemmDlMultipleD_km_kn_mnILi256EffNS_5TupleIJfEEEfNS0_12element_wise11PassThroughES8_NS7_7AddReluELNS_25InMemoryDataOperationEnumE0ENS_16TensorDescriptorINS5_IJNS_5EmbedINS5_IJiiiiEEESD_Lb0EEENS_11PassThroughIiEENS_3PadIiiiLb0EEESI_SG_SG_NSC_INS5_IJiiEEESJ_Lb0EEESK_SG_NS_23Merge_v2_magic_divisionINS5_IJiiiEEEEESN_NS_8RightPadIiiLb0EEESP_NS_7UnMergeISJ_Lb0EEESG_EEENS5_IJNS_8SequenceIJLi0EEEENST_IJLi1EEEENST_IJLi2EEEENST_IJLi3EEEENST_IJLi4EEEENST_IJLi5EEEENST_IJLi6EEEENST_IJLi7EEEENST_IJLi8EEEENST_IJLi9ELi11ELi13EEEENST_IJLi10ELi12ELi14EEEENST_IJLi15EEEENST_IJLi16EEEENST_IJLi18EEEENST_IJLi17EEEEEEENS5_IJNST_IJLi1ELi2ELi3ELi4EEEESZ_S10_S11_S12_NST_IJLi9EEEENST_IJLi10ELi11EEEENST_IJLi12ELi13EEEENST_IJLi14EEEES15_S16_S18_S17_NST_IJLi19ELi20EEEENST_IJLi21EEEEEEENST_IJLi19ELi21ELi20EEEElEENSB_INS5_IJSR_SP_SP_SR_SG_EEENS5_IJSU_SV_SW_SY_SX_EEENS5_IJNST_IJLi1ELi2EEEESX_SY_NST_IJLi5ELi6EEEES11_EEENST_IJLi5ELi7ELi6EEEElEENSB_INS5_IJSK_SP_SP_EEENS5_IJSU_SV_SW_EEENS5_IJS1M_SX_SY_EEENST_IJLi3ELi4EEEElEELi128ELi128ELi16ELi1ELi4ELi4ELi1ENST_IJLi8ELi2EEEES1W_NST_IJLi8ELi1ELi1ELi1EEEENST_IJLi2ELi1ELi128ELi1EEEENST_IJLi1ELi2ELi0ELi3EEEES1Z_NST_IJLi4ELi1ELi1ELi1EEEES1Z_NST_IJLi1ELi1ELi1ELi1EEEES1X_S1Y_S1Z_S1Z_S20_S1Z_S21_NST_IJLi0ELi1ELi2ELi3ELi4ELi5EEEELi5ELi4EEEfNS5_IJPKfEEEfS8_S8_S9_NSB_INS5_IJSE_SG_SI_SI_SG_SG_SK_SK_SG_SN_SN_SP_SP_SR_SG_SG_NSQ_INS5_IJiNS_17integral_constantIiLi128EEEEEELb0EEENSF_INS27_IiLi1EEEEEEEENS5_IJSU_SV_SW_SX_SY_SZ_S10_S11_S12_S13_S14_S15_S16_S17_S18_NST_IJLi19EEEES1G_NST_IJLi20EEEEEEENS5_IJS1A_SZ_S10_S11_S12_S1B_S1C_S1D_S1E_S15_S16_S18_S17_S1F_S1G_NST_IJLi22EEEENST_IJLi23ELi24EEEENST_IJLi25EEEEEEENST_IJLi22ELi23ELi24ELi25EEEElEENSB_INS5_IJSR_SP_SP_SR_SG_SG_S2A_S2C_EEENS5_IJSU_SV_SW_SY_SX_SZ_S11_S10_EEENS5_IJS1M_SX_SY_S1N_S11_S12_NST_IJLi9ELi10EEEENST_IJLi11EEEEEEENST_IJLi8ELi9ELi10ELi11EEEElEENS5_IJNSB_INS5_IJSK_SP_SP_NSQ_INS5_IJiNS27_IiLi2EEENS27_IiLi64EEEEEELb0EEES2X_EEENS5_IJSU_SV_SW_SX_SY_EEENS5_IJS1M_SX_SY_NST_IJLi5ELi6ELi7EEEENST_IJLi8ELi9ELi10EEEEEEENST_IJLi5ELi6ELi7ELi8ELi9ELi10EEEElEEEEES34_NS_31BlockToCTileMap_M00_N00_M01_N01ILi128ELi128ES1V_Lb0EEENS1_30ComputePtrOffsetOfStridedBatchILi1ELi1ELi1EvEELb1ELb0EEEvPKT0_S3C_T1_PT2_T3_T4_T5_iT6_T7_T8_T9_T10_T11_,comdat
	.globl	_ZN2ck16tensor_operation6device12_GLOBAL__N_137kernel_grouped_conv_fwd_dl_multiple_dINS_32GridwiseGemmDlMultipleD_km_kn_mnILi256EffNS_5TupleIJfEEEfNS0_12element_wise11PassThroughES8_NS7_7AddReluELNS_25InMemoryDataOperationEnumE0ENS_16TensorDescriptorINS5_IJNS_5EmbedINS5_IJiiiiEEESD_Lb0EEENS_11PassThroughIiEENS_3PadIiiiLb0EEESI_SG_SG_NSC_INS5_IJiiEEESJ_Lb0EEESK_SG_NS_23Merge_v2_magic_divisionINS5_IJiiiEEEEESN_NS_8RightPadIiiLb0EEESP_NS_7UnMergeISJ_Lb0EEESG_EEENS5_IJNS_8SequenceIJLi0EEEENST_IJLi1EEEENST_IJLi2EEEENST_IJLi3EEEENST_IJLi4EEEENST_IJLi5EEEENST_IJLi6EEEENST_IJLi7EEEENST_IJLi8EEEENST_IJLi9ELi11ELi13EEEENST_IJLi10ELi12ELi14EEEENST_IJLi15EEEENST_IJLi16EEEENST_IJLi18EEEENST_IJLi17EEEEEEENS5_IJNST_IJLi1ELi2ELi3ELi4EEEESZ_S10_S11_S12_NST_IJLi9EEEENST_IJLi10ELi11EEEENST_IJLi12ELi13EEEENST_IJLi14EEEES15_S16_S18_S17_NST_IJLi19ELi20EEEENST_IJLi21EEEEEEENST_IJLi19ELi21ELi20EEEElEENSB_INS5_IJSR_SP_SP_SR_SG_EEENS5_IJSU_SV_SW_SY_SX_EEENS5_IJNST_IJLi1ELi2EEEESX_SY_NST_IJLi5ELi6EEEES11_EEENST_IJLi5ELi7ELi6EEEElEENSB_INS5_IJSK_SP_SP_EEENS5_IJSU_SV_SW_EEENS5_IJS1M_SX_SY_EEENST_IJLi3ELi4EEEElEELi128ELi128ELi16ELi1ELi4ELi4ELi1ENST_IJLi8ELi2EEEES1W_NST_IJLi8ELi1ELi1ELi1EEEENST_IJLi2ELi1ELi128ELi1EEEENST_IJLi1ELi2ELi0ELi3EEEES1Z_NST_IJLi4ELi1ELi1ELi1EEEES1Z_NST_IJLi1ELi1ELi1ELi1EEEES1X_S1Y_S1Z_S1Z_S20_S1Z_S21_NST_IJLi0ELi1ELi2ELi3ELi4ELi5EEEELi5ELi4EEEfNS5_IJPKfEEEfS8_S8_S9_NSB_INS5_IJSE_SG_SI_SI_SG_SG_SK_SK_SG_SN_SN_SP_SP_SR_SG_SG_NSQ_INS5_IJiNS_17integral_constantIiLi128EEEEEELb0EEENSF_INS27_IiLi1EEEEEEEENS5_IJSU_SV_SW_SX_SY_SZ_S10_S11_S12_S13_S14_S15_S16_S17_S18_NST_IJLi19EEEES1G_NST_IJLi20EEEEEEENS5_IJS1A_SZ_S10_S11_S12_S1B_S1C_S1D_S1E_S15_S16_S18_S17_S1F_S1G_NST_IJLi22EEEENST_IJLi23ELi24EEEENST_IJLi25EEEEEEENST_IJLi22ELi23ELi24ELi25EEEElEENSB_INS5_IJSR_SP_SP_SR_SG_SG_S2A_S2C_EEENS5_IJSU_SV_SW_SY_SX_SZ_S11_S10_EEENS5_IJS1M_SX_SY_S1N_S11_S12_NST_IJLi9ELi10EEEENST_IJLi11EEEEEEENST_IJLi8ELi9ELi10ELi11EEEElEENS5_IJNSB_INS5_IJSK_SP_SP_NSQ_INS5_IJiNS27_IiLi2EEENS27_IiLi64EEEEEELb0EEES2X_EEENS5_IJSU_SV_SW_SX_SY_EEENS5_IJS1M_SX_SY_NST_IJLi5ELi6ELi7EEEENST_IJLi8ELi9ELi10EEEEEEENST_IJLi5ELi6ELi7ELi8ELi9ELi10EEEElEEEEES34_NS_31BlockToCTileMap_M00_N00_M01_N01ILi128ELi128ES1V_Lb0EEENS1_30ComputePtrOffsetOfStridedBatchILi1ELi1ELi1EvEELb1ELb0EEEvPKT0_S3C_T1_PT2_T3_T4_T5_iT6_T7_T8_T9_T10_T11_ ; -- Begin function _ZN2ck16tensor_operation6device12_GLOBAL__N_137kernel_grouped_conv_fwd_dl_multiple_dINS_32GridwiseGemmDlMultipleD_km_kn_mnILi256EffNS_5TupleIJfEEEfNS0_12element_wise11PassThroughES8_NS7_7AddReluELNS_25InMemoryDataOperationEnumE0ENS_16TensorDescriptorINS5_IJNS_5EmbedINS5_IJiiiiEEESD_Lb0EEENS_11PassThroughIiEENS_3PadIiiiLb0EEESI_SG_SG_NSC_INS5_IJiiEEESJ_Lb0EEESK_SG_NS_23Merge_v2_magic_divisionINS5_IJiiiEEEEESN_NS_8RightPadIiiLb0EEESP_NS_7UnMergeISJ_Lb0EEESG_EEENS5_IJNS_8SequenceIJLi0EEEENST_IJLi1EEEENST_IJLi2EEEENST_IJLi3EEEENST_IJLi4EEEENST_IJLi5EEEENST_IJLi6EEEENST_IJLi7EEEENST_IJLi8EEEENST_IJLi9ELi11ELi13EEEENST_IJLi10ELi12ELi14EEEENST_IJLi15EEEENST_IJLi16EEEENST_IJLi18EEEENST_IJLi17EEEEEEENS5_IJNST_IJLi1ELi2ELi3ELi4EEEESZ_S10_S11_S12_NST_IJLi9EEEENST_IJLi10ELi11EEEENST_IJLi12ELi13EEEENST_IJLi14EEEES15_S16_S18_S17_NST_IJLi19ELi20EEEENST_IJLi21EEEEEEENST_IJLi19ELi21ELi20EEEElEENSB_INS5_IJSR_SP_SP_SR_SG_EEENS5_IJSU_SV_SW_SY_SX_EEENS5_IJNST_IJLi1ELi2EEEESX_SY_NST_IJLi5ELi6EEEES11_EEENST_IJLi5ELi7ELi6EEEElEENSB_INS5_IJSK_SP_SP_EEENS5_IJSU_SV_SW_EEENS5_IJS1M_SX_SY_EEENST_IJLi3ELi4EEEElEELi128ELi128ELi16ELi1ELi4ELi4ELi1ENST_IJLi8ELi2EEEES1W_NST_IJLi8ELi1ELi1ELi1EEEENST_IJLi2ELi1ELi128ELi1EEEENST_IJLi1ELi2ELi0ELi3EEEES1Z_NST_IJLi4ELi1ELi1ELi1EEEES1Z_NST_IJLi1ELi1ELi1ELi1EEEES1X_S1Y_S1Z_S1Z_S20_S1Z_S21_NST_IJLi0ELi1ELi2ELi3ELi4ELi5EEEELi5ELi4EEEfNS5_IJPKfEEEfS8_S8_S9_NSB_INS5_IJSE_SG_SI_SI_SG_SG_SK_SK_SG_SN_SN_SP_SP_SR_SG_SG_NSQ_INS5_IJiNS_17integral_constantIiLi128EEEEEELb0EEENSF_INS27_IiLi1EEEEEEEENS5_IJSU_SV_SW_SX_SY_SZ_S10_S11_S12_S13_S14_S15_S16_S17_S18_NST_IJLi19EEEES1G_NST_IJLi20EEEEEEENS5_IJS1A_SZ_S10_S11_S12_S1B_S1C_S1D_S1E_S15_S16_S18_S17_S1F_S1G_NST_IJLi22EEEENST_IJLi23ELi24EEEENST_IJLi25EEEEEEENST_IJLi22ELi23ELi24ELi25EEEElEENSB_INS5_IJSR_SP_SP_SR_SG_SG_S2A_S2C_EEENS5_IJSU_SV_SW_SY_SX_SZ_S11_S10_EEENS5_IJS1M_SX_SY_S1N_S11_S12_NST_IJLi9ELi10EEEENST_IJLi11EEEEEEENST_IJLi8ELi9ELi10ELi11EEEElEENS5_IJNSB_INS5_IJSK_SP_SP_NSQ_INS5_IJiNS27_IiLi2EEENS27_IiLi64EEEEEELb0EEES2X_EEENS5_IJSU_SV_SW_SX_SY_EEENS5_IJS1M_SX_SY_NST_IJLi5ELi6ELi7EEEENST_IJLi8ELi9ELi10EEEEEEENST_IJLi5ELi6ELi7ELi8ELi9ELi10EEEElEEEEES34_NS_31BlockToCTileMap_M00_N00_M01_N01ILi128ELi128ES1V_Lb0EEENS1_30ComputePtrOffsetOfStridedBatchILi1ELi1ELi1EvEELb1ELb0EEEvPKT0_S3C_T1_PT2_T3_T4_T5_iT6_T7_T8_T9_T10_T11_
	.p2align	8
	.type	_ZN2ck16tensor_operation6device12_GLOBAL__N_137kernel_grouped_conv_fwd_dl_multiple_dINS_32GridwiseGemmDlMultipleD_km_kn_mnILi256EffNS_5TupleIJfEEEfNS0_12element_wise11PassThroughES8_NS7_7AddReluELNS_25InMemoryDataOperationEnumE0ENS_16TensorDescriptorINS5_IJNS_5EmbedINS5_IJiiiiEEESD_Lb0EEENS_11PassThroughIiEENS_3PadIiiiLb0EEESI_SG_SG_NSC_INS5_IJiiEEESJ_Lb0EEESK_SG_NS_23Merge_v2_magic_divisionINS5_IJiiiEEEEESN_NS_8RightPadIiiLb0EEESP_NS_7UnMergeISJ_Lb0EEESG_EEENS5_IJNS_8SequenceIJLi0EEEENST_IJLi1EEEENST_IJLi2EEEENST_IJLi3EEEENST_IJLi4EEEENST_IJLi5EEEENST_IJLi6EEEENST_IJLi7EEEENST_IJLi8EEEENST_IJLi9ELi11ELi13EEEENST_IJLi10ELi12ELi14EEEENST_IJLi15EEEENST_IJLi16EEEENST_IJLi18EEEENST_IJLi17EEEEEEENS5_IJNST_IJLi1ELi2ELi3ELi4EEEESZ_S10_S11_S12_NST_IJLi9EEEENST_IJLi10ELi11EEEENST_IJLi12ELi13EEEENST_IJLi14EEEES15_S16_S18_S17_NST_IJLi19ELi20EEEENST_IJLi21EEEEEEENST_IJLi19ELi21ELi20EEEElEENSB_INS5_IJSR_SP_SP_SR_SG_EEENS5_IJSU_SV_SW_SY_SX_EEENS5_IJNST_IJLi1ELi2EEEESX_SY_NST_IJLi5ELi6EEEES11_EEENST_IJLi5ELi7ELi6EEEElEENSB_INS5_IJSK_SP_SP_EEENS5_IJSU_SV_SW_EEENS5_IJS1M_SX_SY_EEENST_IJLi3ELi4EEEElEELi128ELi128ELi16ELi1ELi4ELi4ELi1ENST_IJLi8ELi2EEEES1W_NST_IJLi8ELi1ELi1ELi1EEEENST_IJLi2ELi1ELi128ELi1EEEENST_IJLi1ELi2ELi0ELi3EEEES1Z_NST_IJLi4ELi1ELi1ELi1EEEES1Z_NST_IJLi1ELi1ELi1ELi1EEEES1X_S1Y_S1Z_S1Z_S20_S1Z_S21_NST_IJLi0ELi1ELi2ELi3ELi4ELi5EEEELi5ELi4EEEfNS5_IJPKfEEEfS8_S8_S9_NSB_INS5_IJSE_SG_SI_SI_SG_SG_SK_SK_SG_SN_SN_SP_SP_SR_SG_SG_NSQ_INS5_IJiNS_17integral_constantIiLi128EEEEEELb0EEENSF_INS27_IiLi1EEEEEEEENS5_IJSU_SV_SW_SX_SY_SZ_S10_S11_S12_S13_S14_S15_S16_S17_S18_NST_IJLi19EEEES1G_NST_IJLi20EEEEEEENS5_IJS1A_SZ_S10_S11_S12_S1B_S1C_S1D_S1E_S15_S16_S18_S17_S1F_S1G_NST_IJLi22EEEENST_IJLi23ELi24EEEENST_IJLi25EEEEEEENST_IJLi22ELi23ELi24ELi25EEEElEENSB_INS5_IJSR_SP_SP_SR_SG_SG_S2A_S2C_EEENS5_IJSU_SV_SW_SY_SX_SZ_S11_S10_EEENS5_IJS1M_SX_SY_S1N_S11_S12_NST_IJLi9ELi10EEEENST_IJLi11EEEEEEENST_IJLi8ELi9ELi10ELi11EEEElEENS5_IJNSB_INS5_IJSK_SP_SP_NSQ_INS5_IJiNS27_IiLi2EEENS27_IiLi64EEEEEELb0EEES2X_EEENS5_IJSU_SV_SW_SX_SY_EEENS5_IJS1M_SX_SY_NST_IJLi5ELi6ELi7EEEENST_IJLi8ELi9ELi10EEEEEEENST_IJLi5ELi6ELi7ELi8ELi9ELi10EEEElEEEEES34_NS_31BlockToCTileMap_M00_N00_M01_N01ILi128ELi128ES1V_Lb0EEENS1_30ComputePtrOffsetOfStridedBatchILi1ELi1ELi1EvEELb1ELb0EEEvPKT0_S3C_T1_PT2_T3_T4_T5_iT6_T7_T8_T9_T10_T11_,@function
_ZN2ck16tensor_operation6device12_GLOBAL__N_137kernel_grouped_conv_fwd_dl_multiple_dINS_32GridwiseGemmDlMultipleD_km_kn_mnILi256EffNS_5TupleIJfEEEfNS0_12element_wise11PassThroughES8_NS7_7AddReluELNS_25InMemoryDataOperationEnumE0ENS_16TensorDescriptorINS5_IJNS_5EmbedINS5_IJiiiiEEESD_Lb0EEENS_11PassThroughIiEENS_3PadIiiiLb0EEESI_SG_SG_NSC_INS5_IJiiEEESJ_Lb0EEESK_SG_NS_23Merge_v2_magic_divisionINS5_IJiiiEEEEESN_NS_8RightPadIiiLb0EEESP_NS_7UnMergeISJ_Lb0EEESG_EEENS5_IJNS_8SequenceIJLi0EEEENST_IJLi1EEEENST_IJLi2EEEENST_IJLi3EEEENST_IJLi4EEEENST_IJLi5EEEENST_IJLi6EEEENST_IJLi7EEEENST_IJLi8EEEENST_IJLi9ELi11ELi13EEEENST_IJLi10ELi12ELi14EEEENST_IJLi15EEEENST_IJLi16EEEENST_IJLi18EEEENST_IJLi17EEEEEEENS5_IJNST_IJLi1ELi2ELi3ELi4EEEESZ_S10_S11_S12_NST_IJLi9EEEENST_IJLi10ELi11EEEENST_IJLi12ELi13EEEENST_IJLi14EEEES15_S16_S18_S17_NST_IJLi19ELi20EEEENST_IJLi21EEEEEEENST_IJLi19ELi21ELi20EEEElEENSB_INS5_IJSR_SP_SP_SR_SG_EEENS5_IJSU_SV_SW_SY_SX_EEENS5_IJNST_IJLi1ELi2EEEESX_SY_NST_IJLi5ELi6EEEES11_EEENST_IJLi5ELi7ELi6EEEElEENSB_INS5_IJSK_SP_SP_EEENS5_IJSU_SV_SW_EEENS5_IJS1M_SX_SY_EEENST_IJLi3ELi4EEEElEELi128ELi128ELi16ELi1ELi4ELi4ELi1ENST_IJLi8ELi2EEEES1W_NST_IJLi8ELi1ELi1ELi1EEEENST_IJLi2ELi1ELi128ELi1EEEENST_IJLi1ELi2ELi0ELi3EEEES1Z_NST_IJLi4ELi1ELi1ELi1EEEES1Z_NST_IJLi1ELi1ELi1ELi1EEEES1X_S1Y_S1Z_S1Z_S20_S1Z_S21_NST_IJLi0ELi1ELi2ELi3ELi4ELi5EEEELi5ELi4EEEfNS5_IJPKfEEEfS8_S8_S9_NSB_INS5_IJSE_SG_SI_SI_SG_SG_SK_SK_SG_SN_SN_SP_SP_SR_SG_SG_NSQ_INS5_IJiNS_17integral_constantIiLi128EEEEEELb0EEENSF_INS27_IiLi1EEEEEEEENS5_IJSU_SV_SW_SX_SY_SZ_S10_S11_S12_S13_S14_S15_S16_S17_S18_NST_IJLi19EEEES1G_NST_IJLi20EEEEEEENS5_IJS1A_SZ_S10_S11_S12_S1B_S1C_S1D_S1E_S15_S16_S18_S17_S1F_S1G_NST_IJLi22EEEENST_IJLi23ELi24EEEENST_IJLi25EEEEEEENST_IJLi22ELi23ELi24ELi25EEEElEENSB_INS5_IJSR_SP_SP_SR_SG_SG_S2A_S2C_EEENS5_IJSU_SV_SW_SY_SX_SZ_S11_S10_EEENS5_IJS1M_SX_SY_S1N_S11_S12_NST_IJLi9ELi10EEEENST_IJLi11EEEEEEENST_IJLi8ELi9ELi10ELi11EEEElEENS5_IJNSB_INS5_IJSK_SP_SP_NSQ_INS5_IJiNS27_IiLi2EEENS27_IiLi64EEEEEELb0EEES2X_EEENS5_IJSU_SV_SW_SX_SY_EEENS5_IJS1M_SX_SY_NST_IJLi5ELi6ELi7EEEENST_IJLi8ELi9ELi10EEEEEEENST_IJLi5ELi6ELi7ELi8ELi9ELi10EEEElEEEEES34_NS_31BlockToCTileMap_M00_N00_M01_N01ILi128ELi128ES1V_Lb0EEENS1_30ComputePtrOffsetOfStridedBatchILi1ELi1ELi1EvEELb1ELb0EEEvPKT0_S3C_T1_PT2_T3_T4_T5_iT6_T7_T8_T9_T10_T11_: ; @_ZN2ck16tensor_operation6device12_GLOBAL__N_137kernel_grouped_conv_fwd_dl_multiple_dINS_32GridwiseGemmDlMultipleD_km_kn_mnILi256EffNS_5TupleIJfEEEfNS0_12element_wise11PassThroughES8_NS7_7AddReluELNS_25InMemoryDataOperationEnumE0ENS_16TensorDescriptorINS5_IJNS_5EmbedINS5_IJiiiiEEESD_Lb0EEENS_11PassThroughIiEENS_3PadIiiiLb0EEESI_SG_SG_NSC_INS5_IJiiEEESJ_Lb0EEESK_SG_NS_23Merge_v2_magic_divisionINS5_IJiiiEEEEESN_NS_8RightPadIiiLb0EEESP_NS_7UnMergeISJ_Lb0EEESG_EEENS5_IJNS_8SequenceIJLi0EEEENST_IJLi1EEEENST_IJLi2EEEENST_IJLi3EEEENST_IJLi4EEEENST_IJLi5EEEENST_IJLi6EEEENST_IJLi7EEEENST_IJLi8EEEENST_IJLi9ELi11ELi13EEEENST_IJLi10ELi12ELi14EEEENST_IJLi15EEEENST_IJLi16EEEENST_IJLi18EEEENST_IJLi17EEEEEEENS5_IJNST_IJLi1ELi2ELi3ELi4EEEESZ_S10_S11_S12_NST_IJLi9EEEENST_IJLi10ELi11EEEENST_IJLi12ELi13EEEENST_IJLi14EEEES15_S16_S18_S17_NST_IJLi19ELi20EEEENST_IJLi21EEEEEEENST_IJLi19ELi21ELi20EEEElEENSB_INS5_IJSR_SP_SP_SR_SG_EEENS5_IJSU_SV_SW_SY_SX_EEENS5_IJNST_IJLi1ELi2EEEESX_SY_NST_IJLi5ELi6EEEES11_EEENST_IJLi5ELi7ELi6EEEElEENSB_INS5_IJSK_SP_SP_EEENS5_IJSU_SV_SW_EEENS5_IJS1M_SX_SY_EEENST_IJLi3ELi4EEEElEELi128ELi128ELi16ELi1ELi4ELi4ELi1ENST_IJLi8ELi2EEEES1W_NST_IJLi8ELi1ELi1ELi1EEEENST_IJLi2ELi1ELi128ELi1EEEENST_IJLi1ELi2ELi0ELi3EEEES1Z_NST_IJLi4ELi1ELi1ELi1EEEES1Z_NST_IJLi1ELi1ELi1ELi1EEEES1X_S1Y_S1Z_S1Z_S20_S1Z_S21_NST_IJLi0ELi1ELi2ELi3ELi4ELi5EEEELi5ELi4EEEfNS5_IJPKfEEEfS8_S8_S9_NSB_INS5_IJSE_SG_SI_SI_SG_SG_SK_SK_SG_SN_SN_SP_SP_SR_SG_SG_NSQ_INS5_IJiNS_17integral_constantIiLi128EEEEEELb0EEENSF_INS27_IiLi1EEEEEEEENS5_IJSU_SV_SW_SX_SY_SZ_S10_S11_S12_S13_S14_S15_S16_S17_S18_NST_IJLi19EEEES1G_NST_IJLi20EEEEEEENS5_IJS1A_SZ_S10_S11_S12_S1B_S1C_S1D_S1E_S15_S16_S18_S17_S1F_S1G_NST_IJLi22EEEENST_IJLi23ELi24EEEENST_IJLi25EEEEEEENST_IJLi22ELi23ELi24ELi25EEEElEENSB_INS5_IJSR_SP_SP_SR_SG_SG_S2A_S2C_EEENS5_IJSU_SV_SW_SY_SX_SZ_S11_S10_EEENS5_IJS1M_SX_SY_S1N_S11_S12_NST_IJLi9ELi10EEEENST_IJLi11EEEEEEENST_IJLi8ELi9ELi10ELi11EEEElEENS5_IJNSB_INS5_IJSK_SP_SP_NSQ_INS5_IJiNS27_IiLi2EEENS27_IiLi64EEEEEELb0EEES2X_EEENS5_IJSU_SV_SW_SX_SY_EEENS5_IJS1M_SX_SY_NST_IJLi5ELi6ELi7EEEENST_IJLi8ELi9ELi10EEEEEEENST_IJLi5ELi6ELi7ELi8ELi9ELi10EEEElEEEEES34_NS_31BlockToCTileMap_M00_N00_M01_N01ILi128ELi128ES1V_Lb0EEENS1_30ComputePtrOffsetOfStridedBatchILi1ELi1ELi1EvEELb1ELb0EEEvPKT0_S3C_T1_PT2_T3_T4_T5_iT6_T7_T8_T9_T10_T11_
; %bb.0:
	s_clause 0x3
	s_load_b256 s[44:51], s[0:1], 0x108
	s_load_b256 s[52:59], s[0:1], 0xe8
	;; [unrolled: 1-line block ×4, first 2 shown]
	s_mov_b64 s[2:3], src_private_base
	s_clause 0x5
	s_load_b256 s[4:11], s[0:1], 0x0
	s_load_b32 s2, s[0:1], 0x24
	s_load_b256 s[16:23], s[0:1], 0x28
	s_load_b256 s[76:83], s[0:1], 0x88
	;; [unrolled: 1-line block ×4, first 2 shown]
	s_mov_b32 s12, s15
	s_movk_i32 s32, 0x280
	s_waitcnt lgkmcnt(0)
	v_dual_mov_b32 v1, s48 :: v_dual_mov_b32 v2, s49
	v_dual_mov_b32 v3, s50 :: v_dual_mov_b32 v4, s51
	v_dual_mov_b32 v5, s44 :: v_dual_mov_b32 v6, s45
	v_dual_mov_b32 v7, s46 :: v_dual_mov_b32 v8, s47
	v_dual_mov_b32 v9, s56 :: v_dual_mov_b32 v10, s57
	v_dual_mov_b32 v11, s58 :: v_dual_mov_b32 v12, s59
	v_dual_mov_b32 v13, s52 :: v_dual_mov_b32 v14, s53
	v_dual_mov_b32 v15, s54 :: v_dual_mov_b32 v16, s55
	v_dual_mov_b32 v17, s64 :: v_dual_mov_b32 v18, s65
	v_dual_mov_b32 v19, s66 :: v_dual_mov_b32 v20, s67
	v_dual_mov_b32 v21, s60 :: v_dual_mov_b32 v22, s61
	v_dual_mov_b32 v25, s72 :: v_dual_mov_b32 v26, s73
	v_dual_mov_b32 v29, s68 :: v_dual_mov_b32 v30, s69
	v_dual_mov_b32 v23, s62 :: v_dual_mov_b32 v24, s63
	v_dual_mov_b32 v27, s74 :: v_dual_mov_b32 v28, s75
	v_dual_mov_b32 v31, s70 :: v_dual_mov_b32 v32, s71
	s_clause 0x7
	scratch_store_b128 off, v[1:4], off offset:240
	scratch_store_b128 off, v[5:8], off offset:224
	;; [unrolled: 1-line block ×8, first 2 shown]
	s_load_b64 s[14:15], s[0:1], 0x128
	s_abs_i32 s13, s2
	s_load_b256 s[44:51], s[0:1], 0x130
	v_cvt_f32_u32_e32 v25, s13
	v_dual_mov_b32 v1, s80 :: v_dual_mov_b32 v2, s81
	v_dual_mov_b32 v3, s82 :: v_dual_mov_b32 v4, s83
	s_delay_alu instid0(VALU_DEP_3)
	v_rcp_iflag_f32_e32 v25, v25
	v_dual_mov_b32 v5, s76 :: v_dual_mov_b32 v6, s77
	v_dual_mov_b32 v7, s78 :: v_dual_mov_b32 v8, s79
	;; [unrolled: 1-line block ×10, first 2 shown]
	s_clause 0x5
	scratch_store_b128 off, v[1:4], off offset:112
	scratch_store_b128 off, v[5:8], off offset:96
	;; [unrolled: 1-line block ×6, first 2 shown]
	v_dual_mov_b32 v1, s20 :: v_dual_mov_b32 v2, s21
	v_dual_mov_b32 v3, s22 :: v_dual_mov_b32 v4, s23
	;; [unrolled: 1-line block ×3, first 2 shown]
	s_waitcnt lgkmcnt(0)
	v_dual_mov_b32 v9, s14 :: v_dual_mov_b32 v10, s15
	s_load_b32 s14, s[0:1], 0x2c8
	v_dual_mov_b32 v7, s18 :: v_dual_mov_b32 v8, s19
	v_mul_f32_e32 v11, 0x4f7ffffe, v25
	s_load_b256 s[24:31], s[0:1], 0x150
	s_clause 0x2
	scratch_store_b128 off, v[1:4], off offset:16
	scratch_store_b128 off, v[5:8], off
	scratch_store_b64 off, v[9:10], off offset:256
	v_dual_mov_b32 v1, s44 :: v_dual_mov_b32 v4, s47
	v_mov_b32_e32 v2, s45
	v_cvt_u32_f32_e32 v17, v11
	s_sub_i32 s16, 0, s13
	v_dual_mov_b32 v5, s48 :: v_dual_mov_b32 v8, s51
	v_mov_b32_e32 v7, s50
	s_delay_alu instid0(VALU_DEP_3)
	v_readfirstlane_b32 s15, v17
	v_dual_mov_b32 v3, s46 :: v_dual_mov_b32 v6, s49
	s_clause 0x1
	s_load_b256 s[44:51], s[0:1], 0x1b0
	s_load_b256 s[36:43], s[0:1], 0x190
	s_mul_i32 s33, s16, s15
	s_waitcnt lgkmcnt(0)
	s_abs_i32 s34, s14
	s_mul_hi_u32 s33, s15, s33
	s_xor_b32 s2, s14, s2
	s_add_i32 s15, s15, s33
	v_dual_mov_b32 v9, s24 :: v_dual_mov_b32 v12, s27
	v_dual_mov_b32 v13, s28 :: v_dual_mov_b32 v16, s31
	s_mul_hi_u32 s15, s34, s15
	v_dual_mov_b32 v10, s25 :: v_dual_mov_b32 v11, s26
	v_dual_mov_b32 v14, s29 :: v_dual_mov_b32 v15, s30
	s_load_b256 s[24:31], s[0:1], 0x170
	s_mul_i32 s14, s15, s13
	s_load_b256 s[16:23], s[0:1], 0x1d0
	s_sub_i32 s14, s34, s14
	s_ashr_i32 s2, s2, 31
	s_add_i32 s33, s15, 1
	s_sub_i32 s34, s14, s13
	s_cmp_ge_u32 s14, s13
	s_load_b256 s[52:59], s[0:1], 0x210
	s_cselect_b32 s15, s33, s15
	s_cselect_b32 s14, s34, s14
	s_add_i32 s33, s15, 1
	s_cmp_ge_u32 s14, s13
	s_clause 0x1
	scratch_store_b128 off, v[1:4], off offset:264
	scratch_store_b128 off, v[5:8], off offset:280
	s_cselect_b32 s13, s33, s15
	s_abs_i32 s33, s12
	s_xor_b32 s13, s13, s2
	s_delay_alu instid0(SALU_CYCLE_1) | instskip(NEXT) | instid1(SALU_CYCLE_1)
	s_sub_i32 s2, s13, s2
	s_abs_i32 s13, s2
	s_waitcnt lgkmcnt(0)
	v_dual_mov_b32 v1, s24 :: v_dual_mov_b32 v4, s27
	v_mov_b32_e32 v2, s25
	s_clause 0x1
	scratch_store_b128 off, v[9:12], off offset:296
	scratch_store_b128 off, v[13:16], off offset:312
	v_cvt_f32_u32_e32 v13, s13
	v_mov_b32_e32 v3, s26
	v_dual_mov_b32 v5, s28 :: v_dual_mov_b32 v8, s31
	v_dual_mov_b32 v9, s16 :: v_dual_mov_b32 v12, s19
	;; [unrolled: 1-line block ×4, first 2 shown]
	v_rcp_iflag_f32_e32 v21, v13
	s_clause 0x1
	scratch_store_b128 off, v[1:4], off offset:328
	scratch_store_b128 off, v[5:8], off offset:344
	v_dual_mov_b32 v1, s48 :: v_dual_mov_b32 v4, s51
	v_mov_b32_e32 v2, s49
	scratch_store_b128 off, v[9:12], off offset:424
	v_mov_b32_e32 v3, s50
	v_dual_mov_b32 v5, s44 :: v_dual_mov_b32 v8, s47
	v_dual_mov_b32 v9, s40 :: v_dual_mov_b32 v12, s43
	;; [unrolled: 1-line block ×7, first 2 shown]
	s_load_b256 s[24:31], s[0:1], 0x1f0
	v_dual_mov_b32 v18, s57 :: v_dual_mov_b32 v19, s58
	s_clause 0x1
	scratch_store_b128 off, v[1:4], off offset:408
	scratch_store_b128 off, v[5:8], off offset:392
	v_dual_mov_b32 v1, s52 :: v_dual_mov_b32 v2, s53
	s_clause 0x2
	scratch_store_b128 off, v[9:12], off offset:376
	scratch_store_b128 off, v[13:16], off offset:360
	;; [unrolled: 1-line block ×3, first 2 shown]
	v_dual_mul_f32 v17, 0x4f7ffffe, v21 :: v_dual_mov_b32 v4, s55
	s_load_b128 s[16:19], s[0:1], 0x290
	s_sub_i32 s15, 0, s13
	v_mov_b32_e32 v3, s54
	s_delay_alu instid0(VALU_DEP_2) | instskip(SKIP_2) | instid1(VALU_DEP_3)
	v_cvt_u32_f32_e32 v17, v17
	v_dual_mov_b32 v13, s20 :: v_dual_mov_b32 v14, s21
	v_dual_mov_b32 v15, s22 :: v_dual_mov_b32 v16, s23
	v_readfirstlane_b32 s14, v17
	s_load_b256 s[36:43], s[0:1], 0x270
	s_xor_b32 s2, s12, s2
	s_waitcnt lgkmcnt(0)
	v_dual_mov_b32 v5, s28 :: v_dual_mov_b32 v6, s29
	s_mul_i32 s15, s15, s14
	v_mov_b32_e32 v7, s30
	s_mul_hi_u32 s15, s14, s15
	v_dual_mov_b32 v8, s31 :: v_dual_mov_b32 v9, s24
	v_dual_mov_b32 v10, s25 :: v_dual_mov_b32 v11, s26
	v_mov_b32_e32 v12, s27
	s_add_i32 s14, s14, s15
	s_clause 0x3
	scratch_store_b128 off, v[1:4], off offset:488
	scratch_store_b128 off, v[5:8], off offset:472
	;; [unrolled: 1-line block ×4, first 2 shown]
	s_mul_hi_u32 s14, s33, s14
	v_dual_mov_b32 v1, s16 :: v_dual_mov_b32 v2, s17
	v_dual_mov_b32 v3, s18 :: v_dual_mov_b32 v4, s19
	s_clause 0x2
	s_load_b256 s[24:31], s[0:1], 0x230
	s_load_b256 s[44:51], s[0:1], 0x250
	;; [unrolled: 1-line block ×3, first 2 shown]
	s_mul_i32 s15, s14, s13
	s_ashr_i32 s2, s2, 31
	s_sub_i32 s15, s33, s15
	s_add_i32 s33, s14, 1
	s_sub_i32 s34, s15, s13
	s_cmp_ge_u32 s15, s13
	scratch_store_b128 off, v[1:4], off offset:616
	s_cselect_b32 s14, s33, s14
	s_cselect_b32 s15, s34, s15
	s_add_i32 s33, s14, 1
	s_cmp_ge_u32 s15, s13
	s_mov_b32 s15, 0
	s_cselect_b32 s13, s33, s14
	v_mov_b32_e32 v1, s40
	s_xor_b32 s13, s13, s2
	v_mov_b32_e32 v2, s41
	s_sub_i32 s2, s13, s2
	s_waitcnt lgkmcnt(0)
	v_mov_b32_e32 v9, s28
	s_ashr_i32 s13, s2, 31
	v_mov_b32_e32 v13, s24
	v_dual_mov_b32 v11, s30 :: v_dual_mov_b32 v16, s27
	v_dual_mov_b32 v14, s25 :: v_dual_mov_b32 v15, s26
	s_mul_i32 s14, s16, s13
	s_mul_hi_u32 s24, s16, s2
	s_mul_i32 s17, s17, s2
	s_add_i32 s14, s24, s14
	s_mul_i32 s24, s18, s13
	s_mul_hi_u32 s25, s18, s2
	s_add_i32 s26, s14, s17
	s_add_i32 s17, s25, s24
	s_mul_i32 s19, s19, s2
	s_mul_i32 s14, s16, s2
	s_add_i32 s24, s17, s19
	s_mul_i32 s16, s22, s13
	s_mul_i32 s13, s20, s13
	s_mul_hi_u32 s17, s20, s2
	s_mul_hi_u32 s19, s22, s2
	s_add_i32 s13, s17, s13
	s_mul_i32 s17, s21, s2
	s_add_i32 s19, s19, s16
	s_add_i32 s17, s13, s17
	s_mul_i32 s16, s20, s2
	s_mul_i32 s13, s23, s2
	s_lshl_b64 s[16:17], s[16:17], 2
	s_add_i32 s13, s19, s13
	s_add_u32 s20, s8, s16
	s_addc_u32 s21, s9, s17
	s_lshl_b32 s9, s26, 2
	s_mov_b32 s8, s15
	s_lshl_b64 s[16:17], s[14:15], 2
	s_mul_i32 s18, s18, s2
	s_or_b64 s[8:9], s[8:9], s[16:17]
	s_mov_b32 s19, s15
	s_add_u32 s14, s4, s8
	s_addc_u32 s23, s5, s9
	s_lshl_b32 s5, s24, 2
	s_mov_b32 s4, s15
	s_lshl_b64 s[8:9], s[18:19], 2
	v_dual_mov_b32 v3, s42 :: v_dual_mov_b32 v4, s43
	v_dual_mov_b32 v5, s36 :: v_dual_mov_b32 v6, s37
	;; [unrolled: 1-line block ×3, first 2 shown]
	s_or_b64 s[4:5], s[4:5], s[8:9]
	s_mul_i32 s16, s22, s2
	s_mov_b32 s17, s15
	s_add_u32 s2, s6, s4
	s_addc_u32 s18, s7, s5
	s_lshl_b32 s5, s13, 2
	s_mov_b32 s4, s15
	s_lshl_b64 s[6:7], s[16:17], 2
	s_clause 0x1
	scratch_store_b128 off, v[1:4], off offset:600
	scratch_store_b128 off, v[5:8], off offset:584
	v_mov_b32_e32 v1, s48
	v_dual_mov_b32 v5, s44 :: v_dual_mov_b32 v10, s29
	v_dual_mov_b32 v2, s49 :: v_dual_mov_b32 v3, s50
	v_mov_b32_e32 v8, s47
	v_dual_mov_b32 v4, s51 :: v_dual_mov_b32 v7, s46
	v_mov_b32_e32 v12, s31
	s_or_b64 s[4:5], s[4:5], s[6:7]
	v_mov_b32_e32 v6, s45
	s_add_u32 s4, s10, s4
	s_addc_u32 s5, s11, s5
	s_clause 0x1
	scratch_store_b128 off, v[1:4], off offset:568
	scratch_store_b128 off, v[5:8], off offset:552
	v_dual_mov_b32 v31, v0 :: v_dual_mov_b32 v4, s20
	v_dual_mov_b32 v0, s14 :: v_dual_mov_b32 v1, s23
	v_mov_b32_e32 v6, s4
	v_mov_b32_e32 v2, s2
	s_clause 0x1
	scratch_store_b128 off, v[9:12], off offset:536
	scratch_store_b128 off, v[13:16], off offset:520
	v_dual_mov_b32 v3, s18 :: v_dual_mov_b32 v8, 0
	v_dual_mov_b32 v5, s21 :: v_dual_mov_b32 v10, 0x108
	;; [unrolled: 1-line block ×5, first 2 shown]
	v_mov_b32_e32 v13, s3
	v_mov_b32_e32 v15, s3
	;; [unrolled: 1-line block ×3, first 2 shown]
	s_add_u32 s8, s0, 0x2c8
	s_addc_u32 s9, s1, 0
	s_getpc_b64 s[0:1]
	s_add_u32 s0, s0, _ZN2ck32GridwiseGemmDlMultipleD_km_kn_mnILi256EffNS_5TupleIJfEEEfNS_16tensor_operation12element_wise11PassThroughES5_NS4_7AddReluELNS_25InMemoryDataOperationEnumE0ENS_16TensorDescriptorINS1_IJNS_5EmbedINS1_IJiiiiEEESA_Lb0EEENS_11PassThroughIiEENS_3PadIiiiLb0EEESF_SD_SD_NS9_INS1_IJiiEEESG_Lb0EEESH_SD_NS_23Merge_v2_magic_divisionINS1_IJiiiEEEEESK_NS_8RightPadIiiLb0EEESM_NS_7UnMergeISG_Lb0EEESD_EEENS1_IJNS_8SequenceIJLi0EEEENSQ_IJLi1EEEENSQ_IJLi2EEEENSQ_IJLi3EEEENSQ_IJLi4EEEENSQ_IJLi5EEEENSQ_IJLi6EEEENSQ_IJLi7EEEENSQ_IJLi8EEEENSQ_IJLi9ELi11ELi13EEEENSQ_IJLi10ELi12ELi14EEEENSQ_IJLi15EEEENSQ_IJLi16EEEENSQ_IJLi18EEEENSQ_IJLi17EEEEEEENS1_IJNSQ_IJLi1ELi2ELi3ELi4EEEESW_SX_SY_SZ_NSQ_IJLi9EEEENSQ_IJLi10ELi11EEEENSQ_IJLi12ELi13EEEENSQ_IJLi14EEEES12_S13_S15_S14_NSQ_IJLi19ELi20EEEENSQ_IJLi21EEEEEEENSQ_IJLi19ELi21ELi20EEEElEENS8_INS1_IJSO_SM_SM_SO_SD_EEENS1_IJSR_SS_ST_SV_SU_EEENS1_IJNSQ_IJLi1ELi2EEEESU_SV_NSQ_IJLi5ELi6EEEESY_EEENSQ_IJLi5ELi7ELi6EEEElEENS8_INS1_IJSH_SM_SM_EEENS1_IJSR_SS_ST_EEENS1_IJS1J_SU_SV_EEENSQ_IJLi3ELi4EEEElEELi128ELi128ELi16ELi1ELi4ELi4ELi1ENSQ_IJLi8ELi2EEEES1T_NSQ_IJLi8ELi1ELi1ELi1EEEENSQ_IJLi2ELi1ELi128ELi1EEEENSQ_IJLi1ELi2ELi0ELi3EEEES1W_NSQ_IJLi4ELi1ELi1ELi1EEEES1W_NSQ_IJLi1ELi1ELi1ELi1EEEES1U_S1V_S1W_S1W_S1X_S1W_S1Y_NSQ_IJLi0ELi1ELi2ELi3ELi4ELi5EEEELi5ELi4EE3RunINS1_IJNS8_INS1_IJSH_SM_SM_NSN_INS1_IJiNS_17integral_constantIiLi2EEENS22_IiLi64EEEEEELb0EEES26_EEENS1_IJSR_SS_ST_SU_SV_EEENS1_IJS1J_SU_SV_NSQ_IJLi5ELi6ELi7EEEENSQ_IJLi8ELi9ELi10EEEEEEENSQ_IJLi5ELi6ELi7ELi8ELi9ELi10EEEElEEEEELb1ELb0ENS_31BlockToCTileMap_M00_N00_M01_N01ILi128ELi128ES1S_Lb0EEEEEvPKfS2I_NS1_IJS2I_EEEPfPvRKS5_S2N_RKS6_RKNS8_INS1_IJSB_SD_SF_SF_SD_SD_SH_SH_SD_SK_SK_SM_SM_SO_SD_SD_NSN_INS1_IJiNS22_IiLi128EEEEEELb0EEENSC_INS22_IiLi1EEEEEEEENS1_IJSR_SS_ST_SU_SV_SW_SX_SY_SZ_S10_S11_S12_S13_S14_S15_NSQ_IJLi19EEEES1D_NSQ_IJLi20EEEEEEENS1_IJS17_SW_SX_SY_SZ_S18_S19_S1A_S1B_S12_S13_S15_S14_S1C_S1D_NSQ_IJLi22EEEENSQ_IJLi23ELi24EEEENSQ_IJLi25EEEEEEENSQ_IJLi22ELi23ELi24ELi25EEEElEERKNS8_INS1_IJSO_SM_SM_SO_SD_SD_S2S_S2U_EEENS1_IJSR_SS_ST_SV_SU_SW_SY_SX_EEENS1_IJS1J_SU_SV_S1K_SY_SZ_NSQ_IJLi9ELi10EEEENSQ_IJLi11EEEEEEENSQ_IJLi8ELi9ELi10ELi11EEEElEERKT_RKS2D_RKT2_NS22_IbXT0_EEENS22_IbXT1_EEE@rel32@lo+4
	s_addc_u32 s1, s1, _ZN2ck32GridwiseGemmDlMultipleD_km_kn_mnILi256EffNS_5TupleIJfEEEfNS_16tensor_operation12element_wise11PassThroughES5_NS4_7AddReluELNS_25InMemoryDataOperationEnumE0ENS_16TensorDescriptorINS1_IJNS_5EmbedINS1_IJiiiiEEESA_Lb0EEENS_11PassThroughIiEENS_3PadIiiiLb0EEESF_SD_SD_NS9_INS1_IJiiEEESG_Lb0EEESH_SD_NS_23Merge_v2_magic_divisionINS1_IJiiiEEEEESK_NS_8RightPadIiiLb0EEESM_NS_7UnMergeISG_Lb0EEESD_EEENS1_IJNS_8SequenceIJLi0EEEENSQ_IJLi1EEEENSQ_IJLi2EEEENSQ_IJLi3EEEENSQ_IJLi4EEEENSQ_IJLi5EEEENSQ_IJLi6EEEENSQ_IJLi7EEEENSQ_IJLi8EEEENSQ_IJLi9ELi11ELi13EEEENSQ_IJLi10ELi12ELi14EEEENSQ_IJLi15EEEENSQ_IJLi16EEEENSQ_IJLi18EEEENSQ_IJLi17EEEEEEENS1_IJNSQ_IJLi1ELi2ELi3ELi4EEEESW_SX_SY_SZ_NSQ_IJLi9EEEENSQ_IJLi10ELi11EEEENSQ_IJLi12ELi13EEEENSQ_IJLi14EEEES12_S13_S15_S14_NSQ_IJLi19ELi20EEEENSQ_IJLi21EEEEEEENSQ_IJLi19ELi21ELi20EEEElEENS8_INS1_IJSO_SM_SM_SO_SD_EEENS1_IJSR_SS_ST_SV_SU_EEENS1_IJNSQ_IJLi1ELi2EEEESU_SV_NSQ_IJLi5ELi6EEEESY_EEENSQ_IJLi5ELi7ELi6EEEElEENS8_INS1_IJSH_SM_SM_EEENS1_IJSR_SS_ST_EEENS1_IJS1J_SU_SV_EEENSQ_IJLi3ELi4EEEElEELi128ELi128ELi16ELi1ELi4ELi4ELi1ENSQ_IJLi8ELi2EEEES1T_NSQ_IJLi8ELi1ELi1ELi1EEEENSQ_IJLi2ELi1ELi128ELi1EEEENSQ_IJLi1ELi2ELi0ELi3EEEES1W_NSQ_IJLi4ELi1ELi1ELi1EEEES1W_NSQ_IJLi1ELi1ELi1ELi1EEEES1U_S1V_S1W_S1W_S1X_S1W_S1Y_NSQ_IJLi0ELi1ELi2ELi3ELi4ELi5EEEELi5ELi4EE3RunINS1_IJNS8_INS1_IJSH_SM_SM_NSN_INS1_IJiNS_17integral_constantIiLi2EEENS22_IiLi64EEEEEELb0EEES26_EEENS1_IJSR_SS_ST_SU_SV_EEENS1_IJS1J_SU_SV_NSQ_IJLi5ELi6ELi7EEEENSQ_IJLi8ELi9ELi10EEEEEEENSQ_IJLi5ELi6ELi7ELi8ELi9ELi10EEEElEEEEELb1ELb0ENS_31BlockToCTileMap_M00_N00_M01_N01ILi128ELi128ES1S_Lb0EEEEEvPKfS2I_NS1_IJS2I_EEEPfPvRKS5_S2N_RKS6_RKNS8_INS1_IJSB_SD_SF_SF_SD_SD_SH_SH_SD_SK_SK_SM_SM_SO_SD_SD_NSN_INS1_IJiNS22_IiLi128EEEEEELb0EEENSC_INS22_IiLi1EEEEEEEENS1_IJSR_SS_ST_SU_SV_SW_SX_SY_SZ_S10_S11_S12_S13_S14_S15_NSQ_IJLi19EEEES1D_NSQ_IJLi20EEEEEEENS1_IJS17_SW_SX_SY_SZ_S18_S19_S1A_S1B_S12_S13_S15_S14_S1C_S1D_NSQ_IJLi22EEEENSQ_IJLi23ELi24EEEENSQ_IJLi25EEEEEEENSQ_IJLi22ELi23ELi24ELi25EEEElEERKNS8_INS1_IJSO_SM_SM_SO_SD_SD_S2S_S2U_EEENS1_IJSR_SS_ST_SV_SU_SW_SY_SX_EEENS1_IJS1J_SU_SV_S1K_SY_SZ_NSQ_IJLi9ELi10EEEENSQ_IJLi11EEEEEEENSQ_IJLi8ELi9ELi10ELi11EEEElEERKT_RKS2D_RKT2_NS22_IbXT0_EEENS22_IbXT1_EEE@rel32@hi+12
	s_delay_alu instid0(SALU_CYCLE_1)
	s_swappc_b64 s[30:31], s[0:1]
	s_endpgm
	.section	.rodata,"a",@progbits
	.p2align	6, 0x0
	.amdhsa_kernel _ZN2ck16tensor_operation6device12_GLOBAL__N_137kernel_grouped_conv_fwd_dl_multiple_dINS_32GridwiseGemmDlMultipleD_km_kn_mnILi256EffNS_5TupleIJfEEEfNS0_12element_wise11PassThroughES8_NS7_7AddReluELNS_25InMemoryDataOperationEnumE0ENS_16TensorDescriptorINS5_IJNS_5EmbedINS5_IJiiiiEEESD_Lb0EEENS_11PassThroughIiEENS_3PadIiiiLb0EEESI_SG_SG_NSC_INS5_IJiiEEESJ_Lb0EEESK_SG_NS_23Merge_v2_magic_divisionINS5_IJiiiEEEEESN_NS_8RightPadIiiLb0EEESP_NS_7UnMergeISJ_Lb0EEESG_EEENS5_IJNS_8SequenceIJLi0EEEENST_IJLi1EEEENST_IJLi2EEEENST_IJLi3EEEENST_IJLi4EEEENST_IJLi5EEEENST_IJLi6EEEENST_IJLi7EEEENST_IJLi8EEEENST_IJLi9ELi11ELi13EEEENST_IJLi10ELi12ELi14EEEENST_IJLi15EEEENST_IJLi16EEEENST_IJLi18EEEENST_IJLi17EEEEEEENS5_IJNST_IJLi1ELi2ELi3ELi4EEEESZ_S10_S11_S12_NST_IJLi9EEEENST_IJLi10ELi11EEEENST_IJLi12ELi13EEEENST_IJLi14EEEES15_S16_S18_S17_NST_IJLi19ELi20EEEENST_IJLi21EEEEEEENST_IJLi19ELi21ELi20EEEElEENSB_INS5_IJSR_SP_SP_SR_SG_EEENS5_IJSU_SV_SW_SY_SX_EEENS5_IJNST_IJLi1ELi2EEEESX_SY_NST_IJLi5ELi6EEEES11_EEENST_IJLi5ELi7ELi6EEEElEENSB_INS5_IJSK_SP_SP_EEENS5_IJSU_SV_SW_EEENS5_IJS1M_SX_SY_EEENST_IJLi3ELi4EEEElEELi128ELi128ELi16ELi1ELi4ELi4ELi1ENST_IJLi8ELi2EEEES1W_NST_IJLi8ELi1ELi1ELi1EEEENST_IJLi2ELi1ELi128ELi1EEEENST_IJLi1ELi2ELi0ELi3EEEES1Z_NST_IJLi4ELi1ELi1ELi1EEEES1Z_NST_IJLi1ELi1ELi1ELi1EEEES1X_S1Y_S1Z_S1Z_S20_S1Z_S21_NST_IJLi0ELi1ELi2ELi3ELi4ELi5EEEELi5ELi4EEEfNS5_IJPKfEEEfS8_S8_S9_NSB_INS5_IJSE_SG_SI_SI_SG_SG_SK_SK_SG_SN_SN_SP_SP_SR_SG_SG_NSQ_INS5_IJiNS_17integral_constantIiLi128EEEEEELb0EEENSF_INS27_IiLi1EEEEEEEENS5_IJSU_SV_SW_SX_SY_SZ_S10_S11_S12_S13_S14_S15_S16_S17_S18_NST_IJLi19EEEES1G_NST_IJLi20EEEEEEENS5_IJS1A_SZ_S10_S11_S12_S1B_S1C_S1D_S1E_S15_S16_S18_S17_S1F_S1G_NST_IJLi22EEEENST_IJLi23ELi24EEEENST_IJLi25EEEEEEENST_IJLi22ELi23ELi24ELi25EEEElEENSB_INS5_IJSR_SP_SP_SR_SG_SG_S2A_S2C_EEENS5_IJSU_SV_SW_SY_SX_SZ_S11_S10_EEENS5_IJS1M_SX_SY_S1N_S11_S12_NST_IJLi9ELi10EEEENST_IJLi11EEEEEEENST_IJLi8ELi9ELi10ELi11EEEElEENS5_IJNSB_INS5_IJSK_SP_SP_NSQ_INS5_IJiNS27_IiLi2EEENS27_IiLi64EEEEEELb0EEES2X_EEENS5_IJSU_SV_SW_SX_SY_EEENS5_IJS1M_SX_SY_NST_IJLi5ELi6ELi7EEEENST_IJLi8ELi9ELi10EEEEEEENST_IJLi5ELi6ELi7ELi8ELi9ELi10EEEElEEEEES34_NS_31BlockToCTileMap_M00_N00_M01_N01ILi128ELi128ES1V_Lb0EEENS1_30ComputePtrOffsetOfStridedBatchILi1ELi1ELi1EvEELb1ELb0EEEvPKT0_S3C_T1_PT2_T3_T4_T5_iT6_T7_T8_T9_T10_T11_
		.amdhsa_group_segment_fixed_size 32768
		.amdhsa_private_segment_fixed_size 640
		.amdhsa_kernarg_size 968
		.amdhsa_user_sgpr_count 15
		.amdhsa_user_sgpr_dispatch_ptr 0
		.amdhsa_user_sgpr_queue_ptr 0
		.amdhsa_user_sgpr_kernarg_segment_ptr 1
		.amdhsa_user_sgpr_dispatch_id 0
		.amdhsa_user_sgpr_private_segment_size 0
		.amdhsa_wavefront_size32 1
		.amdhsa_uses_dynamic_stack 0
		.amdhsa_enable_private_segment 1
		.amdhsa_system_sgpr_workgroup_id_x 1
		.amdhsa_system_sgpr_workgroup_id_y 0
		.amdhsa_system_sgpr_workgroup_id_z 0
		.amdhsa_system_sgpr_workgroup_info 0
		.amdhsa_system_vgpr_workitem_id 0
		.amdhsa_next_free_vgpr 248
		.amdhsa_next_free_sgpr 84
		.amdhsa_reserve_vcc 1
		.amdhsa_float_round_mode_32 0
		.amdhsa_float_round_mode_16_64 0
		.amdhsa_float_denorm_mode_32 3
		.amdhsa_float_denorm_mode_16_64 3
		.amdhsa_dx10_clamp 1
		.amdhsa_ieee_mode 1
		.amdhsa_fp16_overflow 0
		.amdhsa_workgroup_processor_mode 1
		.amdhsa_memory_ordered 1
		.amdhsa_forward_progress 0
		.amdhsa_shared_vgpr_count 0
		.amdhsa_exception_fp_ieee_invalid_op 0
		.amdhsa_exception_fp_denorm_src 0
		.amdhsa_exception_fp_ieee_div_zero 0
		.amdhsa_exception_fp_ieee_overflow 0
		.amdhsa_exception_fp_ieee_underflow 0
		.amdhsa_exception_fp_ieee_inexact 0
		.amdhsa_exception_int_div_zero 0
	.end_amdhsa_kernel
	.section	.text._ZN2ck16tensor_operation6device12_GLOBAL__N_137kernel_grouped_conv_fwd_dl_multiple_dINS_32GridwiseGemmDlMultipleD_km_kn_mnILi256EffNS_5TupleIJfEEEfNS0_12element_wise11PassThroughES8_NS7_7AddReluELNS_25InMemoryDataOperationEnumE0ENS_16TensorDescriptorINS5_IJNS_5EmbedINS5_IJiiiiEEESD_Lb0EEENS_11PassThroughIiEENS_3PadIiiiLb0EEESI_SG_SG_NSC_INS5_IJiiEEESJ_Lb0EEESK_SG_NS_23Merge_v2_magic_divisionINS5_IJiiiEEEEESN_NS_8RightPadIiiLb0EEESP_NS_7UnMergeISJ_Lb0EEESG_EEENS5_IJNS_8SequenceIJLi0EEEENST_IJLi1EEEENST_IJLi2EEEENST_IJLi3EEEENST_IJLi4EEEENST_IJLi5EEEENST_IJLi6EEEENST_IJLi7EEEENST_IJLi8EEEENST_IJLi9ELi11ELi13EEEENST_IJLi10ELi12ELi14EEEENST_IJLi15EEEENST_IJLi16EEEENST_IJLi18EEEENST_IJLi17EEEEEEENS5_IJNST_IJLi1ELi2ELi3ELi4EEEESZ_S10_S11_S12_NST_IJLi9EEEENST_IJLi10ELi11EEEENST_IJLi12ELi13EEEENST_IJLi14EEEES15_S16_S18_S17_NST_IJLi19ELi20EEEENST_IJLi21EEEEEEENST_IJLi19ELi21ELi20EEEElEENSB_INS5_IJSR_SP_SP_SR_SG_EEENS5_IJSU_SV_SW_SY_SX_EEENS5_IJNST_IJLi1ELi2EEEESX_SY_NST_IJLi5ELi6EEEES11_EEENST_IJLi5ELi7ELi6EEEElEENSB_INS5_IJSK_SP_SP_EEENS5_IJSU_SV_SW_EEENS5_IJS1M_SX_SY_EEENST_IJLi3ELi4EEEElEELi128ELi128ELi16ELi1ELi4ELi4ELi1ENST_IJLi8ELi2EEEES1W_NST_IJLi8ELi1ELi1ELi1EEEENST_IJLi2ELi1ELi128ELi1EEEENST_IJLi1ELi2ELi0ELi3EEEES1Z_NST_IJLi4ELi1ELi1ELi1EEEES1Z_NST_IJLi1ELi1ELi1ELi1EEEES1X_S1Y_S1Z_S1Z_S20_S1Z_S21_NST_IJLi0ELi1ELi2ELi3ELi4ELi5EEEELi5ELi4EEEfNS5_IJPKfEEEfS8_S8_S9_NSB_INS5_IJSE_SG_SI_SI_SG_SG_SK_SK_SG_SN_SN_SP_SP_SR_SG_SG_NSQ_INS5_IJiNS_17integral_constantIiLi128EEEEEELb0EEENSF_INS27_IiLi1EEEEEEEENS5_IJSU_SV_SW_SX_SY_SZ_S10_S11_S12_S13_S14_S15_S16_S17_S18_NST_IJLi19EEEES1G_NST_IJLi20EEEEEEENS5_IJS1A_SZ_S10_S11_S12_S1B_S1C_S1D_S1E_S15_S16_S18_S17_S1F_S1G_NST_IJLi22EEEENST_IJLi23ELi24EEEENST_IJLi25EEEEEEENST_IJLi22ELi23ELi24ELi25EEEElEENSB_INS5_IJSR_SP_SP_SR_SG_SG_S2A_S2C_EEENS5_IJSU_SV_SW_SY_SX_SZ_S11_S10_EEENS5_IJS1M_SX_SY_S1N_S11_S12_NST_IJLi9ELi10EEEENST_IJLi11EEEEEEENST_IJLi8ELi9ELi10ELi11EEEElEENS5_IJNSB_INS5_IJSK_SP_SP_NSQ_INS5_IJiNS27_IiLi2EEENS27_IiLi64EEEEEELb0EEES2X_EEENS5_IJSU_SV_SW_SX_SY_EEENS5_IJS1M_SX_SY_NST_IJLi5ELi6ELi7EEEENST_IJLi8ELi9ELi10EEEEEEENST_IJLi5ELi6ELi7ELi8ELi9ELi10EEEElEEEEES34_NS_31BlockToCTileMap_M00_N00_M01_N01ILi128ELi128ES1V_Lb0EEENS1_30ComputePtrOffsetOfStridedBatchILi1ELi1ELi1EvEELb1ELb0EEEvPKT0_S3C_T1_PT2_T3_T4_T5_iT6_T7_T8_T9_T10_T11_,"axG",@progbits,_ZN2ck16tensor_operation6device12_GLOBAL__N_137kernel_grouped_conv_fwd_dl_multiple_dINS_32GridwiseGemmDlMultipleD_km_kn_mnILi256EffNS_5TupleIJfEEEfNS0_12element_wise11PassThroughES8_NS7_7AddReluELNS_25InMemoryDataOperationEnumE0ENS_16TensorDescriptorINS5_IJNS_5EmbedINS5_IJiiiiEEESD_Lb0EEENS_11PassThroughIiEENS_3PadIiiiLb0EEESI_SG_SG_NSC_INS5_IJiiEEESJ_Lb0EEESK_SG_NS_23Merge_v2_magic_divisionINS5_IJiiiEEEEESN_NS_8RightPadIiiLb0EEESP_NS_7UnMergeISJ_Lb0EEESG_EEENS5_IJNS_8SequenceIJLi0EEEENST_IJLi1EEEENST_IJLi2EEEENST_IJLi3EEEENST_IJLi4EEEENST_IJLi5EEEENST_IJLi6EEEENST_IJLi7EEEENST_IJLi8EEEENST_IJLi9ELi11ELi13EEEENST_IJLi10ELi12ELi14EEEENST_IJLi15EEEENST_IJLi16EEEENST_IJLi18EEEENST_IJLi17EEEEEEENS5_IJNST_IJLi1ELi2ELi3ELi4EEEESZ_S10_S11_S12_NST_IJLi9EEEENST_IJLi10ELi11EEEENST_IJLi12ELi13EEEENST_IJLi14EEEES15_S16_S18_S17_NST_IJLi19ELi20EEEENST_IJLi21EEEEEEENST_IJLi19ELi21ELi20EEEElEENSB_INS5_IJSR_SP_SP_SR_SG_EEENS5_IJSU_SV_SW_SY_SX_EEENS5_IJNST_IJLi1ELi2EEEESX_SY_NST_IJLi5ELi6EEEES11_EEENST_IJLi5ELi7ELi6EEEElEENSB_INS5_IJSK_SP_SP_EEENS5_IJSU_SV_SW_EEENS5_IJS1M_SX_SY_EEENST_IJLi3ELi4EEEElEELi128ELi128ELi16ELi1ELi4ELi4ELi1ENST_IJLi8ELi2EEEES1W_NST_IJLi8ELi1ELi1ELi1EEEENST_IJLi2ELi1ELi128ELi1EEEENST_IJLi1ELi2ELi0ELi3EEEES1Z_NST_IJLi4ELi1ELi1ELi1EEEES1Z_NST_IJLi1ELi1ELi1ELi1EEEES1X_S1Y_S1Z_S1Z_S20_S1Z_S21_NST_IJLi0ELi1ELi2ELi3ELi4ELi5EEEELi5ELi4EEEfNS5_IJPKfEEEfS8_S8_S9_NSB_INS5_IJSE_SG_SI_SI_SG_SG_SK_SK_SG_SN_SN_SP_SP_SR_SG_SG_NSQ_INS5_IJiNS_17integral_constantIiLi128EEEEEELb0EEENSF_INS27_IiLi1EEEEEEEENS5_IJSU_SV_SW_SX_SY_SZ_S10_S11_S12_S13_S14_S15_S16_S17_S18_NST_IJLi19EEEES1G_NST_IJLi20EEEEEEENS5_IJS1A_SZ_S10_S11_S12_S1B_S1C_S1D_S1E_S15_S16_S18_S17_S1F_S1G_NST_IJLi22EEEENST_IJLi23ELi24EEEENST_IJLi25EEEEEEENST_IJLi22ELi23ELi24ELi25EEEElEENSB_INS5_IJSR_SP_SP_SR_SG_SG_S2A_S2C_EEENS5_IJSU_SV_SW_SY_SX_SZ_S11_S10_EEENS5_IJS1M_SX_SY_S1N_S11_S12_NST_IJLi9ELi10EEEENST_IJLi11EEEEEEENST_IJLi8ELi9ELi10ELi11EEEElEENS5_IJNSB_INS5_IJSK_SP_SP_NSQ_INS5_IJiNS27_IiLi2EEENS27_IiLi64EEEEEELb0EEES2X_EEENS5_IJSU_SV_SW_SX_SY_EEENS5_IJS1M_SX_SY_NST_IJLi5ELi6ELi7EEEENST_IJLi8ELi9ELi10EEEEEEENST_IJLi5ELi6ELi7ELi8ELi9ELi10EEEElEEEEES34_NS_31BlockToCTileMap_M00_N00_M01_N01ILi128ELi128ES1V_Lb0EEENS1_30ComputePtrOffsetOfStridedBatchILi1ELi1ELi1EvEELb1ELb0EEEvPKT0_S3C_T1_PT2_T3_T4_T5_iT6_T7_T8_T9_T10_T11_,comdat
.Lfunc_end10:
	.size	_ZN2ck16tensor_operation6device12_GLOBAL__N_137kernel_grouped_conv_fwd_dl_multiple_dINS_32GridwiseGemmDlMultipleD_km_kn_mnILi256EffNS_5TupleIJfEEEfNS0_12element_wise11PassThroughES8_NS7_7AddReluELNS_25InMemoryDataOperationEnumE0ENS_16TensorDescriptorINS5_IJNS_5EmbedINS5_IJiiiiEEESD_Lb0EEENS_11PassThroughIiEENS_3PadIiiiLb0EEESI_SG_SG_NSC_INS5_IJiiEEESJ_Lb0EEESK_SG_NS_23Merge_v2_magic_divisionINS5_IJiiiEEEEESN_NS_8RightPadIiiLb0EEESP_NS_7UnMergeISJ_Lb0EEESG_EEENS5_IJNS_8SequenceIJLi0EEEENST_IJLi1EEEENST_IJLi2EEEENST_IJLi3EEEENST_IJLi4EEEENST_IJLi5EEEENST_IJLi6EEEENST_IJLi7EEEENST_IJLi8EEEENST_IJLi9ELi11ELi13EEEENST_IJLi10ELi12ELi14EEEENST_IJLi15EEEENST_IJLi16EEEENST_IJLi18EEEENST_IJLi17EEEEEEENS5_IJNST_IJLi1ELi2ELi3ELi4EEEESZ_S10_S11_S12_NST_IJLi9EEEENST_IJLi10ELi11EEEENST_IJLi12ELi13EEEENST_IJLi14EEEES15_S16_S18_S17_NST_IJLi19ELi20EEEENST_IJLi21EEEEEEENST_IJLi19ELi21ELi20EEEElEENSB_INS5_IJSR_SP_SP_SR_SG_EEENS5_IJSU_SV_SW_SY_SX_EEENS5_IJNST_IJLi1ELi2EEEESX_SY_NST_IJLi5ELi6EEEES11_EEENST_IJLi5ELi7ELi6EEEElEENSB_INS5_IJSK_SP_SP_EEENS5_IJSU_SV_SW_EEENS5_IJS1M_SX_SY_EEENST_IJLi3ELi4EEEElEELi128ELi128ELi16ELi1ELi4ELi4ELi1ENST_IJLi8ELi2EEEES1W_NST_IJLi8ELi1ELi1ELi1EEEENST_IJLi2ELi1ELi128ELi1EEEENST_IJLi1ELi2ELi0ELi3EEEES1Z_NST_IJLi4ELi1ELi1ELi1EEEES1Z_NST_IJLi1ELi1ELi1ELi1EEEES1X_S1Y_S1Z_S1Z_S20_S1Z_S21_NST_IJLi0ELi1ELi2ELi3ELi4ELi5EEEELi5ELi4EEEfNS5_IJPKfEEEfS8_S8_S9_NSB_INS5_IJSE_SG_SI_SI_SG_SG_SK_SK_SG_SN_SN_SP_SP_SR_SG_SG_NSQ_INS5_IJiNS_17integral_constantIiLi128EEEEEELb0EEENSF_INS27_IiLi1EEEEEEEENS5_IJSU_SV_SW_SX_SY_SZ_S10_S11_S12_S13_S14_S15_S16_S17_S18_NST_IJLi19EEEES1G_NST_IJLi20EEEEEEENS5_IJS1A_SZ_S10_S11_S12_S1B_S1C_S1D_S1E_S15_S16_S18_S17_S1F_S1G_NST_IJLi22EEEENST_IJLi23ELi24EEEENST_IJLi25EEEEEEENST_IJLi22ELi23ELi24ELi25EEEElEENSB_INS5_IJSR_SP_SP_SR_SG_SG_S2A_S2C_EEENS5_IJSU_SV_SW_SY_SX_SZ_S11_S10_EEENS5_IJS1M_SX_SY_S1N_S11_S12_NST_IJLi9ELi10EEEENST_IJLi11EEEEEEENST_IJLi8ELi9ELi10ELi11EEEElEENS5_IJNSB_INS5_IJSK_SP_SP_NSQ_INS5_IJiNS27_IiLi2EEENS27_IiLi64EEEEEELb0EEES2X_EEENS5_IJSU_SV_SW_SX_SY_EEENS5_IJS1M_SX_SY_NST_IJLi5ELi6ELi7EEEENST_IJLi8ELi9ELi10EEEEEEENST_IJLi5ELi6ELi7ELi8ELi9ELi10EEEElEEEEES34_NS_31BlockToCTileMap_M00_N00_M01_N01ILi128ELi128ES1V_Lb0EEENS1_30ComputePtrOffsetOfStridedBatchILi1ELi1ELi1EvEELb1ELb0EEEvPKT0_S3C_T1_PT2_T3_T4_T5_iT6_T7_T8_T9_T10_T11_, .Lfunc_end10-_ZN2ck16tensor_operation6device12_GLOBAL__N_137kernel_grouped_conv_fwd_dl_multiple_dINS_32GridwiseGemmDlMultipleD_km_kn_mnILi256EffNS_5TupleIJfEEEfNS0_12element_wise11PassThroughES8_NS7_7AddReluELNS_25InMemoryDataOperationEnumE0ENS_16TensorDescriptorINS5_IJNS_5EmbedINS5_IJiiiiEEESD_Lb0EEENS_11PassThroughIiEENS_3PadIiiiLb0EEESI_SG_SG_NSC_INS5_IJiiEEESJ_Lb0EEESK_SG_NS_23Merge_v2_magic_divisionINS5_IJiiiEEEEESN_NS_8RightPadIiiLb0EEESP_NS_7UnMergeISJ_Lb0EEESG_EEENS5_IJNS_8SequenceIJLi0EEEENST_IJLi1EEEENST_IJLi2EEEENST_IJLi3EEEENST_IJLi4EEEENST_IJLi5EEEENST_IJLi6EEEENST_IJLi7EEEENST_IJLi8EEEENST_IJLi9ELi11ELi13EEEENST_IJLi10ELi12ELi14EEEENST_IJLi15EEEENST_IJLi16EEEENST_IJLi18EEEENST_IJLi17EEEEEEENS5_IJNST_IJLi1ELi2ELi3ELi4EEEESZ_S10_S11_S12_NST_IJLi9EEEENST_IJLi10ELi11EEEENST_IJLi12ELi13EEEENST_IJLi14EEEES15_S16_S18_S17_NST_IJLi19ELi20EEEENST_IJLi21EEEEEEENST_IJLi19ELi21ELi20EEEElEENSB_INS5_IJSR_SP_SP_SR_SG_EEENS5_IJSU_SV_SW_SY_SX_EEENS5_IJNST_IJLi1ELi2EEEESX_SY_NST_IJLi5ELi6EEEES11_EEENST_IJLi5ELi7ELi6EEEElEENSB_INS5_IJSK_SP_SP_EEENS5_IJSU_SV_SW_EEENS5_IJS1M_SX_SY_EEENST_IJLi3ELi4EEEElEELi128ELi128ELi16ELi1ELi4ELi4ELi1ENST_IJLi8ELi2EEEES1W_NST_IJLi8ELi1ELi1ELi1EEEENST_IJLi2ELi1ELi128ELi1EEEENST_IJLi1ELi2ELi0ELi3EEEES1Z_NST_IJLi4ELi1ELi1ELi1EEEES1Z_NST_IJLi1ELi1ELi1ELi1EEEES1X_S1Y_S1Z_S1Z_S20_S1Z_S21_NST_IJLi0ELi1ELi2ELi3ELi4ELi5EEEELi5ELi4EEEfNS5_IJPKfEEEfS8_S8_S9_NSB_INS5_IJSE_SG_SI_SI_SG_SG_SK_SK_SG_SN_SN_SP_SP_SR_SG_SG_NSQ_INS5_IJiNS_17integral_constantIiLi128EEEEEELb0EEENSF_INS27_IiLi1EEEEEEEENS5_IJSU_SV_SW_SX_SY_SZ_S10_S11_S12_S13_S14_S15_S16_S17_S18_NST_IJLi19EEEES1G_NST_IJLi20EEEEEEENS5_IJS1A_SZ_S10_S11_S12_S1B_S1C_S1D_S1E_S15_S16_S18_S17_S1F_S1G_NST_IJLi22EEEENST_IJLi23ELi24EEEENST_IJLi25EEEEEEENST_IJLi22ELi23ELi24ELi25EEEElEENSB_INS5_IJSR_SP_SP_SR_SG_SG_S2A_S2C_EEENS5_IJSU_SV_SW_SY_SX_SZ_S11_S10_EEENS5_IJS1M_SX_SY_S1N_S11_S12_NST_IJLi9ELi10EEEENST_IJLi11EEEEEEENST_IJLi8ELi9ELi10ELi11EEEElEENS5_IJNSB_INS5_IJSK_SP_SP_NSQ_INS5_IJiNS27_IiLi2EEENS27_IiLi64EEEEEELb0EEES2X_EEENS5_IJSU_SV_SW_SX_SY_EEENS5_IJS1M_SX_SY_NST_IJLi5ELi6ELi7EEEENST_IJLi8ELi9ELi10EEEEEEENST_IJLi5ELi6ELi7ELi8ELi9ELi10EEEElEEEEES34_NS_31BlockToCTileMap_M00_N00_M01_N01ILi128ELi128ES1V_Lb0EEENS1_30ComputePtrOffsetOfStridedBatchILi1ELi1ELi1EvEELb1ELb0EEEvPKT0_S3C_T1_PT2_T3_T4_T5_iT6_T7_T8_T9_T10_T11_
                                        ; -- End function
	.section	.AMDGPU.csdata,"",@progbits
; Kernel info:
; codeLenInByte = 1816
; NumSgprs: 86
; NumVgprs: 248
; ScratchSize: 640
; MemoryBound: 0
; FloatMode: 240
; IeeeMode: 1
; LDSByteSize: 32768 bytes/workgroup (compile time only)
; SGPRBlocks: 10
; VGPRBlocks: 30
; NumSGPRsForWavesPerEU: 86
; NumVGPRsForWavesPerEU: 248
; Occupancy: 5
; WaveLimiterHint : 1
; COMPUTE_PGM_RSRC2:SCRATCH_EN: 1
; COMPUTE_PGM_RSRC2:USER_SGPR: 15
; COMPUTE_PGM_RSRC2:TRAP_HANDLER: 0
; COMPUTE_PGM_RSRC2:TGID_X_EN: 1
; COMPUTE_PGM_RSRC2:TGID_Y_EN: 0
; COMPUTE_PGM_RSRC2:TGID_Z_EN: 0
; COMPUTE_PGM_RSRC2:TIDIG_COMP_CNT: 0
	.section	.text._ZN2ck16tensor_operation6device12_GLOBAL__N_137kernel_grouped_conv_fwd_dl_multiple_dINS_32GridwiseGemmDlMultipleD_km_kn_mnILi256EffNS_5TupleIJfEEEfNS0_12element_wise11PassThroughES8_NS7_7AddReluELNS_25InMemoryDataOperationEnumE0ENS_16TensorDescriptorINS5_IJNS_5EmbedINS5_IJiiiiEEESD_Lb0EEENS_11PassThroughIiEENS_3PadIiiiLb0EEESI_SG_SG_NSC_INS5_IJiiEEESJ_Lb0EEESK_SG_NS_23Merge_v2_magic_divisionINS5_IJiiiEEEEESN_NS_8RightPadIiiLb0EEESP_NS_7UnMergeISJ_Lb0EEESG_EEENS5_IJNS_8SequenceIJLi0EEEENST_IJLi1EEEENST_IJLi2EEEENST_IJLi3EEEENST_IJLi4EEEENST_IJLi5EEEENST_IJLi6EEEENST_IJLi7EEEENST_IJLi8EEEENST_IJLi9ELi11ELi13EEEENST_IJLi10ELi12ELi14EEEENST_IJLi15EEEENST_IJLi16EEEENST_IJLi18EEEENST_IJLi17EEEEEEENS5_IJNST_IJLi1ELi2ELi3ELi4EEEESZ_S10_S11_S12_NST_IJLi9EEEENST_IJLi10ELi11EEEENST_IJLi12ELi13EEEENST_IJLi14EEEES15_S16_S18_S17_NST_IJLi19ELi20EEEENST_IJLi21EEEEEEENST_IJLi19ELi21ELi20EEEElEENSB_INS5_IJSR_SP_SP_SR_SG_EEENS5_IJSU_SV_SW_SY_SX_EEENS5_IJNST_IJLi1ELi2EEEESX_SY_NST_IJLi5ELi6EEEES11_EEENST_IJLi5ELi7ELi6EEEElEENSB_INS5_IJSK_SP_SP_EEENS5_IJSU_SV_SW_EEENS5_IJS1M_SX_SY_EEENST_IJLi3ELi4EEEElEELi128ELi128ELi16ELi1ELi4ELi4ELi1ENST_IJLi8ELi2EEEES1W_NST_IJLi8ELi1ELi1ELi1EEEENST_IJLi2ELi1ELi128ELi1EEEENST_IJLi1ELi2ELi0ELi3EEEES1Z_NST_IJLi4ELi1ELi1ELi1EEEES1Z_NST_IJLi1ELi1ELi1ELi1EEEES1X_S1Y_S1Z_S1Z_S20_S1Z_S21_NST_IJLi0ELi1ELi2ELi3ELi4ELi5EEEELi5ELi4EEEfNS5_IJPKfEEEfS8_S8_S9_NSB_INS5_IJSE_SG_SI_SI_SG_SG_SK_SK_SG_SN_SN_SP_SP_SR_SG_SG_NSQ_INS5_IJiNS_17integral_constantIiLi128EEEEEELb0EEENSF_INS27_IiLi1EEEEEEEENS5_IJSU_SV_SW_SX_SY_SZ_S10_S11_S12_S13_S14_S15_S16_S17_S18_NST_IJLi19EEEES1G_NST_IJLi20EEEEEEENS5_IJS1A_SZ_S10_S11_S12_S1B_S1C_S1D_S1E_S15_S16_S18_S17_S1F_S1G_NST_IJLi22EEEENST_IJLi23ELi24EEEENST_IJLi25EEEEEEENST_IJLi22ELi23ELi24ELi25EEEElEENSB_INS5_IJSR_SP_SP_SR_SG_SG_S2A_S2C_EEENS5_IJSU_SV_SW_SY_SX_SZ_S11_S10_EEENS5_IJS1M_SX_SY_S1N_S11_S12_NST_IJLi9ELi10EEEENST_IJLi11EEEEEEENST_IJLi8ELi9ELi10ELi11EEEElEENS5_IJNSB_INS5_IJSK_SP_SP_NSQ_INS5_IJiNS27_IiLi2EEENS27_IiLi64EEEEEELb0EEES2X_EEENS5_IJSU_SV_SW_SX_SY_EEENS5_IJS1M_SX_SY_NST_IJLi5ELi6ELi7EEEENST_IJLi8ELi9ELi10EEEEEEENST_IJLi5ELi6ELi7ELi8ELi9ELi10EEEElEEEEES34_NS_31BlockToCTileMap_M00_N00_M01_N01ILi128ELi128ES1V_Lb0EEENS1_30ComputePtrOffsetOfStridedBatchILi1ELi1ELi1EvEELb0ELb1EEEvPKT0_S3C_T1_PT2_T3_T4_T5_iT6_T7_T8_T9_T10_T11_,"axG",@progbits,_ZN2ck16tensor_operation6device12_GLOBAL__N_137kernel_grouped_conv_fwd_dl_multiple_dINS_32GridwiseGemmDlMultipleD_km_kn_mnILi256EffNS_5TupleIJfEEEfNS0_12element_wise11PassThroughES8_NS7_7AddReluELNS_25InMemoryDataOperationEnumE0ENS_16TensorDescriptorINS5_IJNS_5EmbedINS5_IJiiiiEEESD_Lb0EEENS_11PassThroughIiEENS_3PadIiiiLb0EEESI_SG_SG_NSC_INS5_IJiiEEESJ_Lb0EEESK_SG_NS_23Merge_v2_magic_divisionINS5_IJiiiEEEEESN_NS_8RightPadIiiLb0EEESP_NS_7UnMergeISJ_Lb0EEESG_EEENS5_IJNS_8SequenceIJLi0EEEENST_IJLi1EEEENST_IJLi2EEEENST_IJLi3EEEENST_IJLi4EEEENST_IJLi5EEEENST_IJLi6EEEENST_IJLi7EEEENST_IJLi8EEEENST_IJLi9ELi11ELi13EEEENST_IJLi10ELi12ELi14EEEENST_IJLi15EEEENST_IJLi16EEEENST_IJLi18EEEENST_IJLi17EEEEEEENS5_IJNST_IJLi1ELi2ELi3ELi4EEEESZ_S10_S11_S12_NST_IJLi9EEEENST_IJLi10ELi11EEEENST_IJLi12ELi13EEEENST_IJLi14EEEES15_S16_S18_S17_NST_IJLi19ELi20EEEENST_IJLi21EEEEEEENST_IJLi19ELi21ELi20EEEElEENSB_INS5_IJSR_SP_SP_SR_SG_EEENS5_IJSU_SV_SW_SY_SX_EEENS5_IJNST_IJLi1ELi2EEEESX_SY_NST_IJLi5ELi6EEEES11_EEENST_IJLi5ELi7ELi6EEEElEENSB_INS5_IJSK_SP_SP_EEENS5_IJSU_SV_SW_EEENS5_IJS1M_SX_SY_EEENST_IJLi3ELi4EEEElEELi128ELi128ELi16ELi1ELi4ELi4ELi1ENST_IJLi8ELi2EEEES1W_NST_IJLi8ELi1ELi1ELi1EEEENST_IJLi2ELi1ELi128ELi1EEEENST_IJLi1ELi2ELi0ELi3EEEES1Z_NST_IJLi4ELi1ELi1ELi1EEEES1Z_NST_IJLi1ELi1ELi1ELi1EEEES1X_S1Y_S1Z_S1Z_S20_S1Z_S21_NST_IJLi0ELi1ELi2ELi3ELi4ELi5EEEELi5ELi4EEEfNS5_IJPKfEEEfS8_S8_S9_NSB_INS5_IJSE_SG_SI_SI_SG_SG_SK_SK_SG_SN_SN_SP_SP_SR_SG_SG_NSQ_INS5_IJiNS_17integral_constantIiLi128EEEEEELb0EEENSF_INS27_IiLi1EEEEEEEENS5_IJSU_SV_SW_SX_SY_SZ_S10_S11_S12_S13_S14_S15_S16_S17_S18_NST_IJLi19EEEES1G_NST_IJLi20EEEEEEENS5_IJS1A_SZ_S10_S11_S12_S1B_S1C_S1D_S1E_S15_S16_S18_S17_S1F_S1G_NST_IJLi22EEEENST_IJLi23ELi24EEEENST_IJLi25EEEEEEENST_IJLi22ELi23ELi24ELi25EEEElEENSB_INS5_IJSR_SP_SP_SR_SG_SG_S2A_S2C_EEENS5_IJSU_SV_SW_SY_SX_SZ_S11_S10_EEENS5_IJS1M_SX_SY_S1N_S11_S12_NST_IJLi9ELi10EEEENST_IJLi11EEEEEEENST_IJLi8ELi9ELi10ELi11EEEElEENS5_IJNSB_INS5_IJSK_SP_SP_NSQ_INS5_IJiNS27_IiLi2EEENS27_IiLi64EEEEEELb0EEES2X_EEENS5_IJSU_SV_SW_SX_SY_EEENS5_IJS1M_SX_SY_NST_IJLi5ELi6ELi7EEEENST_IJLi8ELi9ELi10EEEEEEENST_IJLi5ELi6ELi7ELi8ELi9ELi10EEEElEEEEES34_NS_31BlockToCTileMap_M00_N00_M01_N01ILi128ELi128ES1V_Lb0EEENS1_30ComputePtrOffsetOfStridedBatchILi1ELi1ELi1EvEELb0ELb1EEEvPKT0_S3C_T1_PT2_T3_T4_T5_iT6_T7_T8_T9_T10_T11_,comdat
	.globl	_ZN2ck16tensor_operation6device12_GLOBAL__N_137kernel_grouped_conv_fwd_dl_multiple_dINS_32GridwiseGemmDlMultipleD_km_kn_mnILi256EffNS_5TupleIJfEEEfNS0_12element_wise11PassThroughES8_NS7_7AddReluELNS_25InMemoryDataOperationEnumE0ENS_16TensorDescriptorINS5_IJNS_5EmbedINS5_IJiiiiEEESD_Lb0EEENS_11PassThroughIiEENS_3PadIiiiLb0EEESI_SG_SG_NSC_INS5_IJiiEEESJ_Lb0EEESK_SG_NS_23Merge_v2_magic_divisionINS5_IJiiiEEEEESN_NS_8RightPadIiiLb0EEESP_NS_7UnMergeISJ_Lb0EEESG_EEENS5_IJNS_8SequenceIJLi0EEEENST_IJLi1EEEENST_IJLi2EEEENST_IJLi3EEEENST_IJLi4EEEENST_IJLi5EEEENST_IJLi6EEEENST_IJLi7EEEENST_IJLi8EEEENST_IJLi9ELi11ELi13EEEENST_IJLi10ELi12ELi14EEEENST_IJLi15EEEENST_IJLi16EEEENST_IJLi18EEEENST_IJLi17EEEEEEENS5_IJNST_IJLi1ELi2ELi3ELi4EEEESZ_S10_S11_S12_NST_IJLi9EEEENST_IJLi10ELi11EEEENST_IJLi12ELi13EEEENST_IJLi14EEEES15_S16_S18_S17_NST_IJLi19ELi20EEEENST_IJLi21EEEEEEENST_IJLi19ELi21ELi20EEEElEENSB_INS5_IJSR_SP_SP_SR_SG_EEENS5_IJSU_SV_SW_SY_SX_EEENS5_IJNST_IJLi1ELi2EEEESX_SY_NST_IJLi5ELi6EEEES11_EEENST_IJLi5ELi7ELi6EEEElEENSB_INS5_IJSK_SP_SP_EEENS5_IJSU_SV_SW_EEENS5_IJS1M_SX_SY_EEENST_IJLi3ELi4EEEElEELi128ELi128ELi16ELi1ELi4ELi4ELi1ENST_IJLi8ELi2EEEES1W_NST_IJLi8ELi1ELi1ELi1EEEENST_IJLi2ELi1ELi128ELi1EEEENST_IJLi1ELi2ELi0ELi3EEEES1Z_NST_IJLi4ELi1ELi1ELi1EEEES1Z_NST_IJLi1ELi1ELi1ELi1EEEES1X_S1Y_S1Z_S1Z_S20_S1Z_S21_NST_IJLi0ELi1ELi2ELi3ELi4ELi5EEEELi5ELi4EEEfNS5_IJPKfEEEfS8_S8_S9_NSB_INS5_IJSE_SG_SI_SI_SG_SG_SK_SK_SG_SN_SN_SP_SP_SR_SG_SG_NSQ_INS5_IJiNS_17integral_constantIiLi128EEEEEELb0EEENSF_INS27_IiLi1EEEEEEEENS5_IJSU_SV_SW_SX_SY_SZ_S10_S11_S12_S13_S14_S15_S16_S17_S18_NST_IJLi19EEEES1G_NST_IJLi20EEEEEEENS5_IJS1A_SZ_S10_S11_S12_S1B_S1C_S1D_S1E_S15_S16_S18_S17_S1F_S1G_NST_IJLi22EEEENST_IJLi23ELi24EEEENST_IJLi25EEEEEEENST_IJLi22ELi23ELi24ELi25EEEElEENSB_INS5_IJSR_SP_SP_SR_SG_SG_S2A_S2C_EEENS5_IJSU_SV_SW_SY_SX_SZ_S11_S10_EEENS5_IJS1M_SX_SY_S1N_S11_S12_NST_IJLi9ELi10EEEENST_IJLi11EEEEEEENST_IJLi8ELi9ELi10ELi11EEEElEENS5_IJNSB_INS5_IJSK_SP_SP_NSQ_INS5_IJiNS27_IiLi2EEENS27_IiLi64EEEEEELb0EEES2X_EEENS5_IJSU_SV_SW_SX_SY_EEENS5_IJS1M_SX_SY_NST_IJLi5ELi6ELi7EEEENST_IJLi8ELi9ELi10EEEEEEENST_IJLi5ELi6ELi7ELi8ELi9ELi10EEEElEEEEES34_NS_31BlockToCTileMap_M00_N00_M01_N01ILi128ELi128ES1V_Lb0EEENS1_30ComputePtrOffsetOfStridedBatchILi1ELi1ELi1EvEELb0ELb1EEEvPKT0_S3C_T1_PT2_T3_T4_T5_iT6_T7_T8_T9_T10_T11_ ; -- Begin function _ZN2ck16tensor_operation6device12_GLOBAL__N_137kernel_grouped_conv_fwd_dl_multiple_dINS_32GridwiseGemmDlMultipleD_km_kn_mnILi256EffNS_5TupleIJfEEEfNS0_12element_wise11PassThroughES8_NS7_7AddReluELNS_25InMemoryDataOperationEnumE0ENS_16TensorDescriptorINS5_IJNS_5EmbedINS5_IJiiiiEEESD_Lb0EEENS_11PassThroughIiEENS_3PadIiiiLb0EEESI_SG_SG_NSC_INS5_IJiiEEESJ_Lb0EEESK_SG_NS_23Merge_v2_magic_divisionINS5_IJiiiEEEEESN_NS_8RightPadIiiLb0EEESP_NS_7UnMergeISJ_Lb0EEESG_EEENS5_IJNS_8SequenceIJLi0EEEENST_IJLi1EEEENST_IJLi2EEEENST_IJLi3EEEENST_IJLi4EEEENST_IJLi5EEEENST_IJLi6EEEENST_IJLi7EEEENST_IJLi8EEEENST_IJLi9ELi11ELi13EEEENST_IJLi10ELi12ELi14EEEENST_IJLi15EEEENST_IJLi16EEEENST_IJLi18EEEENST_IJLi17EEEEEEENS5_IJNST_IJLi1ELi2ELi3ELi4EEEESZ_S10_S11_S12_NST_IJLi9EEEENST_IJLi10ELi11EEEENST_IJLi12ELi13EEEENST_IJLi14EEEES15_S16_S18_S17_NST_IJLi19ELi20EEEENST_IJLi21EEEEEEENST_IJLi19ELi21ELi20EEEElEENSB_INS5_IJSR_SP_SP_SR_SG_EEENS5_IJSU_SV_SW_SY_SX_EEENS5_IJNST_IJLi1ELi2EEEESX_SY_NST_IJLi5ELi6EEEES11_EEENST_IJLi5ELi7ELi6EEEElEENSB_INS5_IJSK_SP_SP_EEENS5_IJSU_SV_SW_EEENS5_IJS1M_SX_SY_EEENST_IJLi3ELi4EEEElEELi128ELi128ELi16ELi1ELi4ELi4ELi1ENST_IJLi8ELi2EEEES1W_NST_IJLi8ELi1ELi1ELi1EEEENST_IJLi2ELi1ELi128ELi1EEEENST_IJLi1ELi2ELi0ELi3EEEES1Z_NST_IJLi4ELi1ELi1ELi1EEEES1Z_NST_IJLi1ELi1ELi1ELi1EEEES1X_S1Y_S1Z_S1Z_S20_S1Z_S21_NST_IJLi0ELi1ELi2ELi3ELi4ELi5EEEELi5ELi4EEEfNS5_IJPKfEEEfS8_S8_S9_NSB_INS5_IJSE_SG_SI_SI_SG_SG_SK_SK_SG_SN_SN_SP_SP_SR_SG_SG_NSQ_INS5_IJiNS_17integral_constantIiLi128EEEEEELb0EEENSF_INS27_IiLi1EEEEEEEENS5_IJSU_SV_SW_SX_SY_SZ_S10_S11_S12_S13_S14_S15_S16_S17_S18_NST_IJLi19EEEES1G_NST_IJLi20EEEEEEENS5_IJS1A_SZ_S10_S11_S12_S1B_S1C_S1D_S1E_S15_S16_S18_S17_S1F_S1G_NST_IJLi22EEEENST_IJLi23ELi24EEEENST_IJLi25EEEEEEENST_IJLi22ELi23ELi24ELi25EEEElEENSB_INS5_IJSR_SP_SP_SR_SG_SG_S2A_S2C_EEENS5_IJSU_SV_SW_SY_SX_SZ_S11_S10_EEENS5_IJS1M_SX_SY_S1N_S11_S12_NST_IJLi9ELi10EEEENST_IJLi11EEEEEEENST_IJLi8ELi9ELi10ELi11EEEElEENS5_IJNSB_INS5_IJSK_SP_SP_NSQ_INS5_IJiNS27_IiLi2EEENS27_IiLi64EEEEEELb0EEES2X_EEENS5_IJSU_SV_SW_SX_SY_EEENS5_IJS1M_SX_SY_NST_IJLi5ELi6ELi7EEEENST_IJLi8ELi9ELi10EEEEEEENST_IJLi5ELi6ELi7ELi8ELi9ELi10EEEElEEEEES34_NS_31BlockToCTileMap_M00_N00_M01_N01ILi128ELi128ES1V_Lb0EEENS1_30ComputePtrOffsetOfStridedBatchILi1ELi1ELi1EvEELb0ELb1EEEvPKT0_S3C_T1_PT2_T3_T4_T5_iT6_T7_T8_T9_T10_T11_
	.p2align	8
	.type	_ZN2ck16tensor_operation6device12_GLOBAL__N_137kernel_grouped_conv_fwd_dl_multiple_dINS_32GridwiseGemmDlMultipleD_km_kn_mnILi256EffNS_5TupleIJfEEEfNS0_12element_wise11PassThroughES8_NS7_7AddReluELNS_25InMemoryDataOperationEnumE0ENS_16TensorDescriptorINS5_IJNS_5EmbedINS5_IJiiiiEEESD_Lb0EEENS_11PassThroughIiEENS_3PadIiiiLb0EEESI_SG_SG_NSC_INS5_IJiiEEESJ_Lb0EEESK_SG_NS_23Merge_v2_magic_divisionINS5_IJiiiEEEEESN_NS_8RightPadIiiLb0EEESP_NS_7UnMergeISJ_Lb0EEESG_EEENS5_IJNS_8SequenceIJLi0EEEENST_IJLi1EEEENST_IJLi2EEEENST_IJLi3EEEENST_IJLi4EEEENST_IJLi5EEEENST_IJLi6EEEENST_IJLi7EEEENST_IJLi8EEEENST_IJLi9ELi11ELi13EEEENST_IJLi10ELi12ELi14EEEENST_IJLi15EEEENST_IJLi16EEEENST_IJLi18EEEENST_IJLi17EEEEEEENS5_IJNST_IJLi1ELi2ELi3ELi4EEEESZ_S10_S11_S12_NST_IJLi9EEEENST_IJLi10ELi11EEEENST_IJLi12ELi13EEEENST_IJLi14EEEES15_S16_S18_S17_NST_IJLi19ELi20EEEENST_IJLi21EEEEEEENST_IJLi19ELi21ELi20EEEElEENSB_INS5_IJSR_SP_SP_SR_SG_EEENS5_IJSU_SV_SW_SY_SX_EEENS5_IJNST_IJLi1ELi2EEEESX_SY_NST_IJLi5ELi6EEEES11_EEENST_IJLi5ELi7ELi6EEEElEENSB_INS5_IJSK_SP_SP_EEENS5_IJSU_SV_SW_EEENS5_IJS1M_SX_SY_EEENST_IJLi3ELi4EEEElEELi128ELi128ELi16ELi1ELi4ELi4ELi1ENST_IJLi8ELi2EEEES1W_NST_IJLi8ELi1ELi1ELi1EEEENST_IJLi2ELi1ELi128ELi1EEEENST_IJLi1ELi2ELi0ELi3EEEES1Z_NST_IJLi4ELi1ELi1ELi1EEEES1Z_NST_IJLi1ELi1ELi1ELi1EEEES1X_S1Y_S1Z_S1Z_S20_S1Z_S21_NST_IJLi0ELi1ELi2ELi3ELi4ELi5EEEELi5ELi4EEEfNS5_IJPKfEEEfS8_S8_S9_NSB_INS5_IJSE_SG_SI_SI_SG_SG_SK_SK_SG_SN_SN_SP_SP_SR_SG_SG_NSQ_INS5_IJiNS_17integral_constantIiLi128EEEEEELb0EEENSF_INS27_IiLi1EEEEEEEENS5_IJSU_SV_SW_SX_SY_SZ_S10_S11_S12_S13_S14_S15_S16_S17_S18_NST_IJLi19EEEES1G_NST_IJLi20EEEEEEENS5_IJS1A_SZ_S10_S11_S12_S1B_S1C_S1D_S1E_S15_S16_S18_S17_S1F_S1G_NST_IJLi22EEEENST_IJLi23ELi24EEEENST_IJLi25EEEEEEENST_IJLi22ELi23ELi24ELi25EEEElEENSB_INS5_IJSR_SP_SP_SR_SG_SG_S2A_S2C_EEENS5_IJSU_SV_SW_SY_SX_SZ_S11_S10_EEENS5_IJS1M_SX_SY_S1N_S11_S12_NST_IJLi9ELi10EEEENST_IJLi11EEEEEEENST_IJLi8ELi9ELi10ELi11EEEElEENS5_IJNSB_INS5_IJSK_SP_SP_NSQ_INS5_IJiNS27_IiLi2EEENS27_IiLi64EEEEEELb0EEES2X_EEENS5_IJSU_SV_SW_SX_SY_EEENS5_IJS1M_SX_SY_NST_IJLi5ELi6ELi7EEEENST_IJLi8ELi9ELi10EEEEEEENST_IJLi5ELi6ELi7ELi8ELi9ELi10EEEElEEEEES34_NS_31BlockToCTileMap_M00_N00_M01_N01ILi128ELi128ES1V_Lb0EEENS1_30ComputePtrOffsetOfStridedBatchILi1ELi1ELi1EvEELb0ELb1EEEvPKT0_S3C_T1_PT2_T3_T4_T5_iT6_T7_T8_T9_T10_T11_,@function
_ZN2ck16tensor_operation6device12_GLOBAL__N_137kernel_grouped_conv_fwd_dl_multiple_dINS_32GridwiseGemmDlMultipleD_km_kn_mnILi256EffNS_5TupleIJfEEEfNS0_12element_wise11PassThroughES8_NS7_7AddReluELNS_25InMemoryDataOperationEnumE0ENS_16TensorDescriptorINS5_IJNS_5EmbedINS5_IJiiiiEEESD_Lb0EEENS_11PassThroughIiEENS_3PadIiiiLb0EEESI_SG_SG_NSC_INS5_IJiiEEESJ_Lb0EEESK_SG_NS_23Merge_v2_magic_divisionINS5_IJiiiEEEEESN_NS_8RightPadIiiLb0EEESP_NS_7UnMergeISJ_Lb0EEESG_EEENS5_IJNS_8SequenceIJLi0EEEENST_IJLi1EEEENST_IJLi2EEEENST_IJLi3EEEENST_IJLi4EEEENST_IJLi5EEEENST_IJLi6EEEENST_IJLi7EEEENST_IJLi8EEEENST_IJLi9ELi11ELi13EEEENST_IJLi10ELi12ELi14EEEENST_IJLi15EEEENST_IJLi16EEEENST_IJLi18EEEENST_IJLi17EEEEEEENS5_IJNST_IJLi1ELi2ELi3ELi4EEEESZ_S10_S11_S12_NST_IJLi9EEEENST_IJLi10ELi11EEEENST_IJLi12ELi13EEEENST_IJLi14EEEES15_S16_S18_S17_NST_IJLi19ELi20EEEENST_IJLi21EEEEEEENST_IJLi19ELi21ELi20EEEElEENSB_INS5_IJSR_SP_SP_SR_SG_EEENS5_IJSU_SV_SW_SY_SX_EEENS5_IJNST_IJLi1ELi2EEEESX_SY_NST_IJLi5ELi6EEEES11_EEENST_IJLi5ELi7ELi6EEEElEENSB_INS5_IJSK_SP_SP_EEENS5_IJSU_SV_SW_EEENS5_IJS1M_SX_SY_EEENST_IJLi3ELi4EEEElEELi128ELi128ELi16ELi1ELi4ELi4ELi1ENST_IJLi8ELi2EEEES1W_NST_IJLi8ELi1ELi1ELi1EEEENST_IJLi2ELi1ELi128ELi1EEEENST_IJLi1ELi2ELi0ELi3EEEES1Z_NST_IJLi4ELi1ELi1ELi1EEEES1Z_NST_IJLi1ELi1ELi1ELi1EEEES1X_S1Y_S1Z_S1Z_S20_S1Z_S21_NST_IJLi0ELi1ELi2ELi3ELi4ELi5EEEELi5ELi4EEEfNS5_IJPKfEEEfS8_S8_S9_NSB_INS5_IJSE_SG_SI_SI_SG_SG_SK_SK_SG_SN_SN_SP_SP_SR_SG_SG_NSQ_INS5_IJiNS_17integral_constantIiLi128EEEEEELb0EEENSF_INS27_IiLi1EEEEEEEENS5_IJSU_SV_SW_SX_SY_SZ_S10_S11_S12_S13_S14_S15_S16_S17_S18_NST_IJLi19EEEES1G_NST_IJLi20EEEEEEENS5_IJS1A_SZ_S10_S11_S12_S1B_S1C_S1D_S1E_S15_S16_S18_S17_S1F_S1G_NST_IJLi22EEEENST_IJLi23ELi24EEEENST_IJLi25EEEEEEENST_IJLi22ELi23ELi24ELi25EEEElEENSB_INS5_IJSR_SP_SP_SR_SG_SG_S2A_S2C_EEENS5_IJSU_SV_SW_SY_SX_SZ_S11_S10_EEENS5_IJS1M_SX_SY_S1N_S11_S12_NST_IJLi9ELi10EEEENST_IJLi11EEEEEEENST_IJLi8ELi9ELi10ELi11EEEElEENS5_IJNSB_INS5_IJSK_SP_SP_NSQ_INS5_IJiNS27_IiLi2EEENS27_IiLi64EEEEEELb0EEES2X_EEENS5_IJSU_SV_SW_SX_SY_EEENS5_IJS1M_SX_SY_NST_IJLi5ELi6ELi7EEEENST_IJLi8ELi9ELi10EEEEEEENST_IJLi5ELi6ELi7ELi8ELi9ELi10EEEElEEEEES34_NS_31BlockToCTileMap_M00_N00_M01_N01ILi128ELi128ES1V_Lb0EEENS1_30ComputePtrOffsetOfStridedBatchILi1ELi1ELi1EvEELb0ELb1EEEvPKT0_S3C_T1_PT2_T3_T4_T5_iT6_T7_T8_T9_T10_T11_: ; @_ZN2ck16tensor_operation6device12_GLOBAL__N_137kernel_grouped_conv_fwd_dl_multiple_dINS_32GridwiseGemmDlMultipleD_km_kn_mnILi256EffNS_5TupleIJfEEEfNS0_12element_wise11PassThroughES8_NS7_7AddReluELNS_25InMemoryDataOperationEnumE0ENS_16TensorDescriptorINS5_IJNS_5EmbedINS5_IJiiiiEEESD_Lb0EEENS_11PassThroughIiEENS_3PadIiiiLb0EEESI_SG_SG_NSC_INS5_IJiiEEESJ_Lb0EEESK_SG_NS_23Merge_v2_magic_divisionINS5_IJiiiEEEEESN_NS_8RightPadIiiLb0EEESP_NS_7UnMergeISJ_Lb0EEESG_EEENS5_IJNS_8SequenceIJLi0EEEENST_IJLi1EEEENST_IJLi2EEEENST_IJLi3EEEENST_IJLi4EEEENST_IJLi5EEEENST_IJLi6EEEENST_IJLi7EEEENST_IJLi8EEEENST_IJLi9ELi11ELi13EEEENST_IJLi10ELi12ELi14EEEENST_IJLi15EEEENST_IJLi16EEEENST_IJLi18EEEENST_IJLi17EEEEEEENS5_IJNST_IJLi1ELi2ELi3ELi4EEEESZ_S10_S11_S12_NST_IJLi9EEEENST_IJLi10ELi11EEEENST_IJLi12ELi13EEEENST_IJLi14EEEES15_S16_S18_S17_NST_IJLi19ELi20EEEENST_IJLi21EEEEEEENST_IJLi19ELi21ELi20EEEElEENSB_INS5_IJSR_SP_SP_SR_SG_EEENS5_IJSU_SV_SW_SY_SX_EEENS5_IJNST_IJLi1ELi2EEEESX_SY_NST_IJLi5ELi6EEEES11_EEENST_IJLi5ELi7ELi6EEEElEENSB_INS5_IJSK_SP_SP_EEENS5_IJSU_SV_SW_EEENS5_IJS1M_SX_SY_EEENST_IJLi3ELi4EEEElEELi128ELi128ELi16ELi1ELi4ELi4ELi1ENST_IJLi8ELi2EEEES1W_NST_IJLi8ELi1ELi1ELi1EEEENST_IJLi2ELi1ELi128ELi1EEEENST_IJLi1ELi2ELi0ELi3EEEES1Z_NST_IJLi4ELi1ELi1ELi1EEEES1Z_NST_IJLi1ELi1ELi1ELi1EEEES1X_S1Y_S1Z_S1Z_S20_S1Z_S21_NST_IJLi0ELi1ELi2ELi3ELi4ELi5EEEELi5ELi4EEEfNS5_IJPKfEEEfS8_S8_S9_NSB_INS5_IJSE_SG_SI_SI_SG_SG_SK_SK_SG_SN_SN_SP_SP_SR_SG_SG_NSQ_INS5_IJiNS_17integral_constantIiLi128EEEEEELb0EEENSF_INS27_IiLi1EEEEEEEENS5_IJSU_SV_SW_SX_SY_SZ_S10_S11_S12_S13_S14_S15_S16_S17_S18_NST_IJLi19EEEES1G_NST_IJLi20EEEEEEENS5_IJS1A_SZ_S10_S11_S12_S1B_S1C_S1D_S1E_S15_S16_S18_S17_S1F_S1G_NST_IJLi22EEEENST_IJLi23ELi24EEEENST_IJLi25EEEEEEENST_IJLi22ELi23ELi24ELi25EEEElEENSB_INS5_IJSR_SP_SP_SR_SG_SG_S2A_S2C_EEENS5_IJSU_SV_SW_SY_SX_SZ_S11_S10_EEENS5_IJS1M_SX_SY_S1N_S11_S12_NST_IJLi9ELi10EEEENST_IJLi11EEEEEEENST_IJLi8ELi9ELi10ELi11EEEElEENS5_IJNSB_INS5_IJSK_SP_SP_NSQ_INS5_IJiNS27_IiLi2EEENS27_IiLi64EEEEEELb0EEES2X_EEENS5_IJSU_SV_SW_SX_SY_EEENS5_IJS1M_SX_SY_NST_IJLi5ELi6ELi7EEEENST_IJLi8ELi9ELi10EEEEEEENST_IJLi5ELi6ELi7ELi8ELi9ELi10EEEElEEEEES34_NS_31BlockToCTileMap_M00_N00_M01_N01ILi128ELi128ES1V_Lb0EEENS1_30ComputePtrOffsetOfStridedBatchILi1ELi1ELi1EvEELb0ELb1EEEvPKT0_S3C_T1_PT2_T3_T4_T5_iT6_T7_T8_T9_T10_T11_
; %bb.0:
	s_clause 0xc
	s_load_b32 s2, s[0:1], 0x24
	s_load_b128 s[36:39], s[0:1], 0x38
	s_load_b32 s4, s[0:1], 0x2c8
	s_load_b32 s55, s[0:1], 0x100
	;; [unrolled: 1-line block ×7, first 2 shown]
	s_load_b128 s[44:47], s[0:1], 0x260
	s_load_b128 s[48:51], s[0:1], 0x274
	;; [unrolled: 1-line block ×3, first 2 shown]
	s_load_b32 s57, s[0:1], 0x254
	v_lshrrev_b32_e32 v80, 1, v0
	v_lshrrev_b32_e32 v82, 5, v0
	v_dual_mov_b32 v56, 0 :: v_dual_lshlrev_b32 v83, 1, v0
	v_dual_mov_b32 v79, 0 :: v_dual_mov_b32 v44, 0
	v_mov_b32_e32 v77, 0
	s_delay_alu instid0(VALU_DEP_4) | instskip(NEXT) | instid1(VALU_DEP_4)
	v_lshlrev_b32_e32 v93, 6, v82
	v_and_b32_e32 v105, 0x1f8, v83
	v_dual_mov_b32 v46, 0 :: v_dual_and_b32 v83, 0x1fc, v83
	v_dual_mov_b32 v75, 0 :: v_dual_mov_b32 v48, 0
	v_mov_b32_e32 v71, 0
	s_waitcnt lgkmcnt(0)
	s_abs_i32 s3, s2
	s_abs_i32 s7, s4
	v_cvt_f32_u32_e32 v1, s3
	s_sub_i32 s6, 0, s3
	s_xor_b32 s2, s4, s2
	v_sub_nc_u32_e32 v93, v105, v93
	s_ashr_i32 s2, s2, 31
	v_rcp_iflag_f32_e32 v1, v1
	v_sub_nc_u32_e32 v83, v83, v105
	v_dual_mov_b32 v30, 0 :: v_dual_mov_b32 v73, 0
	v_dual_mov_b32 v28, 0 :: v_dual_mov_b32 v63, 0
	;; [unrolled: 1-line block ×4, first 2 shown]
	s_waitcnt_depctr 0xfff
	v_dual_mul_f32 v1, 0x4f7ffffe, v1 :: v_dual_mov_b32 v74, 0
	v_dual_mov_b32 v41, 0 :: v_dual_mov_b32 v62, 0
	v_mov_b32_e32 v49, 0
	s_delay_alu instid0(VALU_DEP_3) | instskip(SKIP_2) | instid1(VALU_DEP_3)
	v_cvt_u32_f32_e32 v1, v1
	v_dual_mov_b32 v60, 0 :: v_dual_mov_b32 v51, 0
	v_dual_mov_b32 v50, 0 :: v_dual_mov_b32 v47, 0
	v_readfirstlane_b32 s5, v1
	v_dual_mov_b32 v40, 0 :: v_dual_mov_b32 v33, 0
	v_dual_mov_b32 v42, 0 :: v_dual_mov_b32 v35, 0
	s_delay_alu instid0(VALU_DEP_3)
	s_mul_i32 s6, s6, s5
	v_dual_mov_b32 v34, 0 :: v_dual_mov_b32 v27, 0
	s_mul_hi_u32 s6, s5, s6
	v_dual_mov_b32 v32, 0 :: v_dual_mov_b32 v25, 0
	s_add_i32 s5, s5, s6
	v_dual_mov_b32 v24, 0 :: v_dual_mov_b32 v21, 0
	s_mul_hi_u32 s5, s7, s5
	v_dual_mov_b32 v19, 0 :: v_dual_mov_b32 v20, 0
	s_mul_i32 s4, s5, s3
	s_add_i32 s6, s5, 1
	s_sub_i32 s4, s7, s4
	v_dual_mov_b32 v67, 0 :: v_dual_mov_b32 v64, 0
	s_sub_i32 s7, s4, s3
	s_cmp_ge_u32 s4, s3
	v_dual_mov_b32 v69, 0 :: v_dual_mov_b32 v54, 0
	s_cselect_b32 s5, s6, s5
	s_cselect_b32 s4, s7, s4
	s_add_i32 s6, s5, 1
	s_cmp_ge_u32 s4, s3
	v_dual_mov_b32 v65, 0 :: v_dual_mov_b32 v52, 0
	s_cselect_b32 s3, s6, s5
	s_abs_i32 s24, s15
	s_xor_b32 s3, s3, s2
	s_load_b256 s[4:11], s[0:1], 0x0
	s_sub_i32 s12, s3, s2
	s_load_b64 s[2:3], s[0:1], 0xc8
	s_abs_i32 s13, s12
	s_xor_b32 s12, s15, s12
	v_cvt_f32_u32_e32 v1, s13
	s_sub_i32 s16, 0, s13
	s_ashr_i32 s12, s12, 31
	v_dual_mov_b32 v53, 0 :: v_dual_mov_b32 v38, 0
	s_delay_alu instid0(VALU_DEP_2)
	v_rcp_iflag_f32_e32 v1, v1
	v_dual_mov_b32 v39, 0 :: v_dual_mov_b32 v36, 0
	v_mov_b32_e32 v37, 0
	v_dual_mov_b32 v23, 0 :: v_dual_mov_b32 v26, 0
	v_mov_b32_e32 v72, 0
	v_mov_b32_e32 v18, 0
	;; [unrolled: 1-line block ×3, first 2 shown]
	s_delay_alu instid0(TRANS32_DEP_1) | instskip(SKIP_3) | instid1(VALU_DEP_4)
	v_dual_mov_b32 v70, 0 :: v_dual_mul_f32 v1, 0x4f7ffffe, v1
	v_mov_b32_e32 v57, 0
	v_dual_mov_b32 v61, 0 :: v_dual_mov_b32 v66, 0
	v_mov_b32_e32 v58, 0
	v_cvt_u32_f32_e32 v1, v1
	v_mov_b32_e32 v43, 0
	v_mov_b32_e32 v31, 0
	;; [unrolled: 1-line block ×3, first 2 shown]
	s_delay_alu instid0(VALU_DEP_4) | instskip(SKIP_2) | instid1(VALU_DEP_3)
	v_readfirstlane_b32 s14, v1
	v_lshlrev_b32_e32 v1, 3, v0
	v_lshlrev_b32_e32 v0, 2, v0
	s_mul_i32 s16, s16, s14
	s_delay_alu instid0(VALU_DEP_2) | instskip(SKIP_1) | instid1(SALU_CYCLE_1)
	v_and_b32_e32 v1, 8, v1
	s_mul_hi_u32 s16, s14, s16
	s_add_i32 s14, s14, s16
	s_load_b256 s[16:23], s[0:1], 0x2a0
	s_mul_hi_u32 s14, s24, s14
	v_or_b32_e32 v2, 4, v1
	s_mul_i32 s25, s14, s13
	v_mul_lo_u32 v91, s55, v1
	s_sub_i32 s24, s24, s25
	s_add_i32 s25, s14, 1
	s_sub_i32 s26, s24, s13
	s_cmp_ge_u32 s24, s13
	v_mul_lo_u32 v94, s55, v2
	s_cselect_b32 s14, s25, s14
	s_cselect_b32 s24, s26, s24
	s_add_i32 s25, s14, 1
	s_cmp_ge_u32 s24, s13
	v_mul_lo_u32 v14, s54, v1
	s_cselect_b32 s13, s25, s14
	v_or_b32_e32 v17, 16, v1
	s_xor_b32 s13, s13, s12
	s_delay_alu instid0(SALU_CYCLE_1) | instskip(NEXT) | instid1(SALU_CYCLE_1)
	s_sub_i32 s14, s13, s12
	s_ashr_i32 s13, s14, 31
	s_waitcnt lgkmcnt(0)
	s_mul_hi_u32 s25, s16, s14
	s_mul_i32 s12, s16, s14
	s_mul_hi_u32 s33, s20, s14
	s_mul_i32 s16, s16, s13
	s_mul_i32 s34, s18, s13
	;; [unrolled: 1-line block ×4, first 2 shown]
	s_mul_hi_u32 s26, s18, s14
	s_mul_i32 s21, s21, s14
	s_add_i32 s16, s25, s16
	s_add_i32 s25, s33, s13
	s_mul_hi_u32 s27, s22, s14
	s_mul_i32 s17, s17, s14
	s_mul_i32 s19, s19, s14
	;; [unrolled: 1-line block ×3, first 2 shown]
	s_add_i32 s20, s26, s34
	s_add_i32 s25, s25, s21
	s_mul_i32 s23, s23, s14
	s_add_i32 s26, s27, s35
	s_add_i32 s13, s16, s17
	s_add_i32 s17, s20, s19
	s_lshl_b64 s[20:21], s[24:25], 2
	s_add_i32 s19, s26, s23
	s_add_u32 s24, s8, s20
	s_addc_u32 s25, s9, s21
	s_lshl_b64 s[8:9], s[12:13], 2
	s_mul_i32 s16, s18, s14
	s_add_u32 s20, s4, s8
	s_addc_u32 s21, s5, s9
	s_lshl_b64 s[4:5], s[16:17], 2
	s_mul_i32 s18, s22, s14
	s_add_u32 s40, s6, s4
	s_addc_u32 s41, s7, s5
	s_lshl_b64 s[4:5], s[18:19], 2
	s_mul_hi_u32 s6, s51, s15
	s_add_u32 s16, s10, s4
	s_addc_u32 s17, s11, s5
	s_add_i32 s4, s15, s6
	s_load_b32 s10, s[0:1], 0x244
	s_lshr_b32 s22, s4, s31
	s_mov_b32 s23, 0x31004000
	s_mul_hi_u32 s4, s22, s50
	s_mov_b32 s43, s23
	s_add_i32 s8, s22, s4
	s_clause 0x1
	s_load_b64 s[4:5], s[0:1], 0xac
	s_load_b64 s[6:7], s[0:1], 0xbc
	s_lshr_b32 s50, s8, s30
	s_load_b64 s[8:9], s[0:1], 0xd4
	s_mul_hi_u32 s11, s50, s49
	s_load_b64 s[18:19], s[0:1], 0xa0
	s_add_i32 s11, s50, s11
	v_mul_hi_u32 v3, v94, s3
	s_lshr_b32 s51, s11, s29
	v_mul_hi_u32 v2, v91, s3
	s_mul_hi_u32 s11, s51, s48
	s_mul_i32 s12, s50, s46
	s_add_i32 s11, s51, s11
	s_sub_i32 s12, s22, s12
	s_lshr_b32 s11, s11, s28
	v_add_nc_u32_e32 v3, v94, v3
	s_mul_i32 s11, s11, s44
	v_add_nc_u32_e32 v2, v91, v2
	s_sub_i32 s11, s51, s11
	s_mul_i32 s51, s51, s45
	s_waitcnt lgkmcnt(0)
	s_mul_i32 s11, s11, s10
	s_mul_i32 s22, s22, s47
	s_add_i32 s12, s12, s11
	v_lshrrev_b32_e32 v3, s9, v3
	s_lshl_b32 s34, s12, 7
	v_lshrrev_b32_e32 v4, s9, v2
	v_or_b32_e32 v97, s34, v80
	s_clause 0x2
	s_load_b64 s[12:13], s[0:1], 0x74
	s_load_b64 s[10:11], s[0:1], 0x84
	s_load_b64 s[48:49], s[0:1], 0x94
	v_mul_hi_u32 v5, v3, s2
	v_mul_lo_u32 v8, v3, s7
	v_mul_hi_u32 v2, v4, s2
	v_mul_hi_u32 v6, v97, s19
	v_mul_lo_u32 v7, v4, s7
	s_sub_i32 s15, s15, s22
	s_clause 0x1
	s_load_b128 s[28:31], s[0:1], 0x4c
	s_load_b64 s[26:27], s[0:1], 0x5c
	s_lshl_b32 s44, s54, 2
	v_add_nc_u32_e32 v5, v3, v5
	v_sub_nc_u32_e32 v92, v94, v8
	v_add_nc_u32_e32 v2, v4, v2
	v_add_nc_u32_e32 v6, v97, v6
	s_lshl_b32 s22, s56, 2
	v_lshrrev_b32_e32 v95, s8, v5
	v_mul_lo_u32 v103, s55, v17
	v_lshrrev_b32_e32 v9, s8, v2
	v_lshrrev_b32_e32 v5, s5, v6
	v_sub_nc_u32_e32 v6, v91, v7
	v_mul_lo_u32 v8, v95, s6
	s_mul_i32 s54, s54, 12
	v_mul_lo_u32 v7, v9, s6
	v_mul_hi_u32 v10, v5, s18
	s_clause 0x4
	s_load_b32 s5, s[0:1], 0x188
	s_load_b64 s[18:19], s[0:1], 0x198
	s_load_b32 s14, s[0:1], 0x1a4
	s_load_b32 s33, s[0:1], 0x1b0
	;; [unrolled: 1-line block ×3, first 2 shown]
	s_waitcnt lgkmcnt(0)
	v_mul_lo_u32 v2, v9, s12
	v_sub_nc_u32_e32 v11, v92, v6
	v_sub_nc_u32_e32 v9, v95, v9
	;; [unrolled: 1-line block ×3, first 2 shown]
	v_mul_lo_u32 v8, v5, s49
	v_sub_nc_u32_e32 v4, v4, v7
	v_add_nc_u32_e32 v10, v5, v10
	v_mul_lo_u32 v99, v9, s12
	v_mul_hi_u32 v22, v103, s3
	v_mov_b32_e32 v55, 0
	v_mul_lo_u32 v3, v4, s10
	v_lshrrev_b32_e32 v7, s4, v10
	s_sub_i32 s4, s50, s51
	v_sub_nc_u32_e32 v12, v96, v4
	s_mul_i32 s4, s4, s57
	v_sub_nc_u32_e32 v8, v97, v8
	v_add_nc_u32_e32 v22, v103, v22
	s_add_i32 s15, s15, s4
	v_mul_lo_u32 v10, v7, s48
	s_lshl_b32 s15, s15, 7
	v_mul_lo_u32 v100, v12, s10
	v_or_b32_e32 v98, s15, v80
	v_mul_lo_u32 v12, v7, s36
	v_lshl_add_u32 v104, s55, 2, v103
	v_lshlrev_b32_e32 v80, 2, v80
	s_sub_i32 s31, s31, s27
	v_sub_nc_u32_e32 v10, v5, v10
	v_mad_u64_u32 v[4:5], null, v98, s42, v[14:15]
	s_lshl_b32 s42, s5, 2
	v_mul_hi_u32 v81, v104, s3
	s_delay_alu instid0(VALU_DEP_3)
	v_mad_u64_u32 v[85:86], null, v10, s13, v[2:3]
	v_mul_lo_u32 v2, v6, s39
	v_lshrrev_b32_e32 v86, s9, v22
	v_mad_u64_u32 v[15:16], null, v8, s11, v[3:4]
	v_mul_lo_u32 v3, v11, s39
	v_lshlrev_b32_e32 v5, 2, v4
	v_add_nc_u32_e32 v101, s44, v4
	v_subrev_nc_u32_e32 v9, s29, v85
	v_mul_hi_u32 v84, v86, s2
	v_add_nc_u32_e32 v81, v104, v81
	v_subrev_nc_u32_e32 v8, s26, v15
	v_mul_lo_u32 v108, v86, s7
	v_mad_u64_u32 v[10:11], null, v99, s37, v[3:4]
	v_mul_lo_u32 v11, v100, s38
	s_delay_alu instid0(VALU_DEP_4)
	v_mad_u64_u32 v[6:7], null, v8, s38, v[2:3]
	buffer_load_b128 v[2:5], v5, s[40:43], 0 offen
	v_mul_lo_u32 v7, v9, s37
	v_lshlrev_b32_e32 v8, 2, v101
	v_lshrrev_b32_e32 v106, s9, v81
	v_add_nc_u32_e32 v81, v86, v84
	v_lshl_or_b32 v84, v1, 9, v80
	v_and_or_b32 v80, v0, 4, v93
	v_sub_nc_u32_e32 v0, v103, v108
	v_mul_hi_u32 v105, v106, s2
	v_add3_u32 v12, v6, v12, v7
	buffer_load_b128 v[6:9], v8, s[40:43], 0 offen
	v_lshrrev_b32_e32 v107, s8, v81
	v_cmp_le_i32_e64 s9, s26, v15
	s_sub_i32 s27, s28, s30
	v_add3_u32 v102, v10, v11, v12
	v_lshlrev_b32_e32 v10, 2, v12
	v_mul_lo_u32 v1, v107, s6
	v_add_nc_u32_e32 v93, v106, v105
	v_cmp_gt_i32_e32 vcc_lo, s53, v98
	v_lshlrev_b32_e32 v16, 2, v102
	s_clause 0x1
	buffer_load_b128 v[10:13], v10, s[20:23], 0 offen
	buffer_load_b128 v[87:90], v16, s[20:23], 0 offen
	s_clause 0x1
	s_load_b32 s11, s[0:1], 0xe4
	s_load_b32 s13, s[0:1], 0xf0
	v_sub_nc_u32_e32 v1, v86, v1
	v_lshrrev_b32_e32 v105, s8, v93
	v_sub_nc_u32_e32 v86, v0, v92
	v_lshl_add_u32 v81, v82, 3, v83
	v_dual_mov_b32 v16, 0 :: v_dual_lshlrev_b32 v83, 2, v80
	v_dual_mov_b32 v17, 0 :: v_dual_mov_b32 v22, 0
	s_delay_alu instid0(VALU_DEP_3)
	v_lshlrev_b32_e32 v82, 2, v81
	s_waitcnt lgkmcnt(0)
	v_cmp_gt_i32_e64 s2, s11, v97
	v_cmp_gt_i32_e64 s4, s13, v91
	v_mad_u64_u32 v[91:92], null, v106, s7, v[0:1]
	v_mul_lo_u32 v0, v86, s39
	v_sub_nc_u32_e32 v86, v105, v107
	v_cmp_gt_i32_e64 s7, s13, v103
	v_cmp_gt_i32_e64 s5, s13, v94
	;; [unrolled: 1-line block ×3, first 2 shown]
	v_cmp_le_i32_e64 s11, s29, v85
	v_mul_lo_u32 v86, v86, s12
	v_sub_nc_u32_e32 v91, v104, v91
	v_add_nc_u32_e32 v97, s54, v101
	s_delay_alu instid0(VALU_DEP_2)
	v_mul_lo_u32 v104, v91, s39
	s_waitcnt vmcnt(3)
	v_mad_u64_u32 v[92:93], null, v105, s6, v[1:2]
	v_sub_nc_u32_e32 v1, v1, v96
	v_sub_nc_u32_e32 v93, v107, v95
	v_add_nc_u32_e32 v107, v85, v99
	v_cmp_gt_i32_e64 s6, s52, v14
	v_add_nc_u32_e32 v14, s44, v14
	v_mul_lo_u32 v1, v1, s10
	v_sub_nc_u32_e32 v92, v106, v92
	v_mul_lo_u32 v105, v93, s12
	v_cmp_gt_i32_e64 s12, s27, v85
	v_cmp_gt_i32_e64 s8, s52, v14
	v_add_nc_u32_e32 v85, s54, v14
	v_mul_lo_u32 v103, v92, s10
	v_cmp_gt_i32_e64 s10, s31, v15
	v_add_nc_u32_e32 v15, v15, v100
	v_add_lshl_u32 v99, v97, s44, 2
	v_mad_u64_u32 v[95:96], null, v105, s37, v[0:1]
	s_delay_alu instid0(VALU_DEP_4) | instskip(NEXT) | instid1(VALU_DEP_3)
	s_and_b32 s13, s9, s10
	v_cmp_le_i32_e64 s9, s26, v15
	v_cmp_gt_i32_e64 s10, s31, v15
	s_and_b32 s28, s4, s13
	v_cmp_le_i32_e64 s4, s29, v107
	v_cmp_gt_i32_e64 s13, s27, v107
	v_mul_lo_u32 v96, v1, s38
	s_and_b32 s9, s9, s10
	s_and_b32 s10, s11, s12
	;; [unrolled: 1-line block ×5, first 2 shown]
	s_and_b32 s4, s6, vcc_lo
	v_mul_lo_u32 v0, v86, s37
	v_cndmask_b32_e64 v5, 0, v5, s4
	v_cndmask_b32_e64 v4, 0, v4, s4
	;; [unrolled: 1-line block ×4, first 2 shown]
	s_and_b32 s4, s8, vcc_lo
	v_mul_lo_u32 v106, v103, s38
	s_waitcnt vmcnt(2)
	v_cndmask_b32_e64 v7, 0, v7, s4
	v_cndmask_b32_e64 v6, 0, v6, s4
	;; [unrolled: 1-line block ×3, first 2 shown]
	s_and_b32 s5, s5, s10
	v_cndmask_b32_e64 v8, 0, v8, s4
	s_and_b32 s4, s2, s9
	ds_store_2addr_stride64_b32 v84, v2, v3 offset0:64 offset1:66
	ds_store_2addr_stride64_b32 v84, v4, v5 offset0:68 offset1:70
	;; [unrolled: 1-line block ×3, first 2 shown]
	s_waitcnt vmcnt(1)
	v_cndmask_b32_e64 v2, 0, v13, s4
	v_cndmask_b32_e64 v3, 0, v12, s4
	;; [unrolled: 1-line block ×4, first 2 shown]
	s_and_b32 s4, s2, s5
	v_add3_u32 v0, v0, v104, v106
	s_waitcnt vmcnt(0)
	v_cndmask_b32_e64 v7, 0, v88, s4
	v_cndmask_b32_e64 v10, 0, v87, s4
	;; [unrolled: 1-line block ×4, first 2 shown]
	ds_store_2addr_stride64_b32 v84, v8, v9 offset0:76 offset1:78
	ds_store_2addr_stride64_b32 v84, v5, v4 offset1:2
	ds_store_2addr_stride64_b32 v84, v3, v2 offset0:4 offset1:6
	ds_store_2addr_stride64_b32 v84, v10, v7 offset0:8 offset1:10
	;; [unrolled: 1-line block ×3, first 2 shown]
	v_add3_u32 v3, v95, v96, v102
	v_add_nc_u32_e32 v1, v15, v1
	s_waitcnt lgkmcnt(0)
	s_barrier
	ds_load_b128 v[87:90], v82
	ds_load_b128 v[91:94], v83 offset:16384
	v_lshlrev_b32_e32 v4, 2, v3
	v_add_lshl_u32 v0, v0, v3, 2
	s_clause 0x1
	buffer_load_b128 v[12:15], v4, s[20:23], 0 offen
	buffer_load_b128 v[8:11], v0, s[20:23], 0 offen
	v_lshlrev_b32_e32 v2, 2, v97
	v_cmp_le_i32_e64 s4, s26, v1
	v_cmp_gt_i32_e64 s5, s31, v1
	v_add_nc_u32_e32 v1, v1, v103
	ds_load_b128 v[95:98], v83 offset:16640
	v_add_nc_u32_e32 v103, v107, v105
	s_and_b32 s6, s4, s5
	v_cmp_le_i32_e64 s4, s26, v1
	v_cmp_gt_i32_e64 s5, s31, v1
	s_clause 0x1
	buffer_load_b128 v[4:7], v2, s[40:43], 0 offen
	buffer_load_b128 v[0:3], v99, s[40:43], 0 offen
	ds_load_b128 v[99:102], v82 offset:256
	s_waitcnt lgkmcnt(2)
	;;#ASMSTART
	
             v_fmac_f32 v72, v87, v91 
             
	;;#ASMEND
	;;#ASMSTART
	
             v_fmac_f32 v68, v87, v92 
             
	;;#ASMEND
	;; [unrolled: 5-line block ×16, first 2 shown]
	s_waitcnt lgkmcnt(1)
	;;#ASMSTART
	
             v_fmac_f32 v79, v87, v95 
             
	;;#ASMEND
	;;#ASMSTART
	
             v_fmac_f32 v78, v87, v96 
             
	;;#ASMEND
	;; [unrolled: 5-line block ×16, first 2 shown]
	ds_load_b128 v[87:90], v82 offset:512
	s_waitcnt lgkmcnt(1)
	;;#ASMSTART
	
             v_fmac_f32 v49, v99, v91 
             
	;;#ASMEND
	;;#ASMSTART
	
             v_fmac_f32 v51, v99, v92 
             
	;;#ASMEND
	;; [unrolled: 5-line block ×16, first 2 shown]
	ds_load_b128 v[91:94], v83 offset:16896
	;;#ASMSTART
	
             v_fmac_f32 v67, v99, v95 
             
	;;#ASMEND
	;;#ASMSTART
	
             v_fmac_f32 v69, v99, v96 
             
	;;#ASMEND
	;; [unrolled: 5-line block ×16, first 2 shown]
	ds_load_b128 v[95:98], v83 offset:17152
	ds_load_b128 v[99:102], v82 offset:768
	s_and_b32 s4, s4, s5
	s_waitcnt lgkmcnt(2)
	;;#ASMSTART
	
             v_fmac_f32 v72, v87, v91 
             
	;;#ASMEND
	;;#ASMSTART
	
             v_fmac_f32 v68, v87, v92 
             
	;;#ASMEND
	;; [unrolled: 5-line block ×16, first 2 shown]
	s_waitcnt lgkmcnt(1)
	;;#ASMSTART
	
             v_fmac_f32 v79, v87, v95 
             
	;;#ASMEND
	;;#ASMSTART
	
             v_fmac_f32 v78, v87, v96 
             
	;;#ASMEND
	;; [unrolled: 5-line block ×16, first 2 shown]
	ds_load_b128 v[87:90], v82 offset:1024
	s_waitcnt lgkmcnt(1)
	;;#ASMSTART
	
             v_fmac_f32 v49, v99, v91 
             
	;;#ASMEND
	;;#ASMSTART
	
             v_fmac_f32 v51, v99, v92 
             
	;;#ASMEND
	;; [unrolled: 5-line block ×16, first 2 shown]
	ds_load_b128 v[91:94], v83 offset:17408
	;;#ASMSTART
	
             v_fmac_f32 v67, v99, v95 
             
	;;#ASMEND
	;;#ASMSTART
	
             v_fmac_f32 v69, v99, v96 
             
	;;#ASMEND
	;; [unrolled: 5-line block ×16, first 2 shown]
	ds_load_b128 v[95:98], v83 offset:17664
	ds_load_b128 v[99:102], v82 offset:1280
	s_waitcnt lgkmcnt(2)
	;;#ASMSTART
	
             v_fmac_f32 v72, v87, v91 
             
	;;#ASMEND
	;;#ASMSTART
	
             v_fmac_f32 v68, v87, v92 
             
	;;#ASMEND
	;; [unrolled: 5-line block ×16, first 2 shown]
	s_waitcnt lgkmcnt(1)
	;;#ASMSTART
	
             v_fmac_f32 v79, v87, v95 
             
	;;#ASMEND
	;;#ASMSTART
	
             v_fmac_f32 v78, v87, v96 
             
	;;#ASMEND
	;; [unrolled: 5-line block ×16, first 2 shown]
	ds_load_b128 v[87:90], v82 offset:1536
	s_waitcnt lgkmcnt(1)
	;;#ASMSTART
	
             v_fmac_f32 v49, v99, v91 
             
	;;#ASMEND
	;;#ASMSTART
	
             v_fmac_f32 v51, v99, v92 
             
	;;#ASMEND
	;; [unrolled: 5-line block ×16, first 2 shown]
	ds_load_b128 v[91:94], v83 offset:17920
	;;#ASMSTART
	
             v_fmac_f32 v67, v99, v95 
             
	;;#ASMEND
	;;#ASMSTART
	
             v_fmac_f32 v69, v99, v96 
             
	;;#ASMEND
	;; [unrolled: 5-line block ×16, first 2 shown]
	ds_load_b128 v[95:98], v83 offset:18176
	ds_load_b128 v[99:102], v82 offset:1792
	s_and_b32 s5, s3, s4
	v_cmp_le_i32_e64 s3, s29, v103
	v_cmp_gt_i32_e64 s4, s27, v103
	s_waitcnt lgkmcnt(2)
	;;#ASMSTART
	
             v_fmac_f32 v72, v87, v91 
             
	;;#ASMEND
	;;#ASMSTART
	
             v_fmac_f32 v68, v87, v92 
             
	;;#ASMEND
	;; [unrolled: 5-line block ×16, first 2 shown]
	s_waitcnt lgkmcnt(1)
	;;#ASMSTART
	
             v_fmac_f32 v79, v87, v95 
             
	;;#ASMEND
	;;#ASMSTART
	
             v_fmac_f32 v78, v87, v96 
             
	;;#ASMEND
	;; [unrolled: 5-line block ×16, first 2 shown]
	ds_load_b128 v[87:90], v82 offset:2048
	s_waitcnt lgkmcnt(1)
	;;#ASMSTART
	
             v_fmac_f32 v49, v99, v91 
             
	;;#ASMEND
	;;#ASMSTART
	
             v_fmac_f32 v51, v99, v92 
             
	;;#ASMEND
	;; [unrolled: 5-line block ×16, first 2 shown]
	ds_load_b128 v[91:94], v83 offset:18432
	;;#ASMSTART
	
             v_fmac_f32 v67, v99, v95 
             
	;;#ASMEND
	;;#ASMSTART
	
             v_fmac_f32 v69, v99, v96 
             
	;;#ASMEND
	;; [unrolled: 5-line block ×16, first 2 shown]
	ds_load_b128 v[95:98], v83 offset:18688
	ds_load_b128 v[99:102], v82 offset:2304
	v_add_nc_u32_e32 v103, v103, v86
	s_waitcnt lgkmcnt(2)
	;;#ASMSTART
	
             v_fmac_f32 v72, v87, v91 
             
	;;#ASMEND
	;;#ASMSTART
	
             v_fmac_f32 v68, v87, v92 
             
	;;#ASMEND
	;; [unrolled: 5-line block ×16, first 2 shown]
	s_waitcnt lgkmcnt(1)
	;;#ASMSTART
	
             v_fmac_f32 v79, v87, v95 
             
	;;#ASMEND
	;;#ASMSTART
	
             v_fmac_f32 v78, v87, v96 
             
	;;#ASMEND
	;; [unrolled: 5-line block ×16, first 2 shown]
	ds_load_b128 v[86:89], v82 offset:2560
	s_waitcnt lgkmcnt(1)
	;;#ASMSTART
	
             v_fmac_f32 v49, v99, v91 
             
	;;#ASMEND
	;;#ASMSTART
	
             v_fmac_f32 v51, v99, v92 
             
	;;#ASMEND
	;; [unrolled: 5-line block ×16, first 2 shown]
	ds_load_b128 v[90:93], v83 offset:18944
	;;#ASMSTART
	
             v_fmac_f32 v67, v99, v95 
             
	;;#ASMEND
	;;#ASMSTART
	
             v_fmac_f32 v69, v99, v96 
             
	;;#ASMEND
	;; [unrolled: 5-line block ×16, first 2 shown]
	ds_load_b128 v[94:97], v83 offset:19200
	ds_load_b128 v[98:101], v82 offset:2816
	s_waitcnt lgkmcnt(2)
	;;#ASMSTART
	
             v_fmac_f32 v72, v86, v90 
             
	;;#ASMEND
	;;#ASMSTART
	
             v_fmac_f32 v68, v86, v91 
             
	;;#ASMEND
	;; [unrolled: 5-line block ×16, first 2 shown]
	s_waitcnt lgkmcnt(1)
	;;#ASMSTART
	
             v_fmac_f32 v79, v86, v94 
             
	;;#ASMEND
	;;#ASMSTART
	
             v_fmac_f32 v78, v86, v95 
             
	;;#ASMEND
	;; [unrolled: 5-line block ×16, first 2 shown]
	ds_load_b128 v[86:89], v82 offset:3072
	s_waitcnt lgkmcnt(1)
	;;#ASMSTART
	
             v_fmac_f32 v49, v98, v90 
             
	;;#ASMEND
	;;#ASMSTART
	
             v_fmac_f32 v51, v98, v91 
             
	;;#ASMEND
	;; [unrolled: 5-line block ×16, first 2 shown]
	ds_load_b128 v[90:93], v83 offset:19456
	;;#ASMSTART
	
             v_fmac_f32 v67, v98, v94 
             
	;;#ASMEND
	;;#ASMSTART
	
             v_fmac_f32 v69, v98, v95 
             
	;;#ASMEND
	;; [unrolled: 5-line block ×16, first 2 shown]
	ds_load_b128 v[94:97], v83 offset:19712
	ds_load_b128 v[98:101], v82 offset:3328
	s_waitcnt lgkmcnt(2)
	;;#ASMSTART
	
             v_fmac_f32 v72, v86, v90 
             
	;;#ASMEND
	;;#ASMSTART
	
             v_fmac_f32 v68, v86, v91 
             
	;;#ASMEND
	;;#ASMSTART
	
             v_fmac_f32 v70, v86, v92 
             
	;;#ASMEND
	;;#ASMSTART
	
             v_fmac_f32 v66, v86, v93 
             
	;;#ASMEND
	;;#ASMSTART
	
             v_fmac_f32 v57, v87, v90 
             
	;;#ASMEND
	;;#ASMSTART
	
             v_fmac_f32 v61, v87, v91 
             
	;;#ASMEND
	;;#ASMSTART
	
             v_fmac_f32 v58, v87, v92 
             
	;;#ASMEND
	;;#ASMSTART
	
             v_fmac_f32 v56, v87, v93 
             
	;;#ASMEND
	;;#ASMSTART
	
             v_fmac_f32 v44, v88, v90 
             
	;;#ASMEND
	;;#ASMSTART
	
             v_fmac_f32 v46, v88, v91 
             
	;;#ASMEND
	;;#ASMSTART
	
             v_fmac_f32 v48, v88, v92 
             
	;;#ASMEND
	;;#ASMSTART
	
             v_fmac_f32 v43, v88, v93 
             
	;;#ASMEND
	;;#ASMSTART
	
             v_fmac_f32 v31, v89, v90 
             
	;;#ASMEND
	;;#ASMSTART
	
             v_fmac_f32 v29, v89, v91 
             
	;;#ASMEND
	;;#ASMSTART
	
             v_fmac_f32 v30, v89, v92 
             
	;;#ASMEND
	;;#ASMSTART
	
             v_fmac_f32 v28, v89, v93 
             
	;;#ASMEND
	s_waitcnt lgkmcnt(1)
	;;#ASMSTART
	
             v_fmac_f32 v79, v86, v94 
             
	;;#ASMEND
	;;#ASMSTART
	
             v_fmac_f32 v78, v86, v95 
             
	;;#ASMEND
	;; [unrolled: 5-line block ×16, first 2 shown]
	ds_load_b128 v[86:89], v82 offset:3584
	s_waitcnt lgkmcnt(1)
	;;#ASMSTART
	
             v_fmac_f32 v49, v98, v90 
             
	;;#ASMEND
	;;#ASMSTART
	
             v_fmac_f32 v51, v98, v91 
             
	;;#ASMEND
	;; [unrolled: 5-line block ×16, first 2 shown]
	ds_load_b128 v[90:93], v83 offset:19968
	;;#ASMSTART
	
             v_fmac_f32 v67, v98, v94 
             
	;;#ASMEND
	;;#ASMSTART
	
             v_fmac_f32 v69, v98, v95 
             
	;;#ASMEND
	;; [unrolled: 5-line block ×16, first 2 shown]
	ds_load_b128 v[94:97], v83 offset:20224
	ds_load_b128 v[98:101], v82 offset:3840
	s_and_b32 s6, s7, s6
	s_and_b32 s7, s3, s4
	v_cmp_le_i32_e64 s3, s29, v103
	v_cmp_gt_i32_e64 s4, s27, v103
	s_and_b32 s6, s6, s7
	v_add_nc_u32_e32 v102, s44, v85
	s_waitcnt lgkmcnt(2)
	;;#ASMSTART
	
             v_fmac_f32 v72, v86, v90 
             
	;;#ASMEND
	;;#ASMSTART
	
             v_fmac_f32 v68, v86, v91 
             
	;;#ASMEND
	s_and_b32 s3, s3, s4
	;;#ASMSTART
	
             v_fmac_f32 v70, v86, v92 
             
	;;#ASMEND
	s_and_b32 s4, s5, s3
	s_and_b32 s3, s2, s6
	;; [unrolled: 1-line block ×3, first 2 shown]
	;;#ASMSTART
	
             v_fmac_f32 v66, v86, v93 
             
	;;#ASMEND
	s_waitcnt vmcnt(2)
	v_cndmask_b32_e64 v11, 0, v11, s2
	v_cndmask_b32_e64 v10, 0, v10, s2
	;; [unrolled: 1-line block ×4, first 2 shown]
	v_cmp_gt_i32_e64 s2, s52, v85
	;;#ASMSTART
	
             v_fmac_f32 v57, v87, v90 
             
	;;#ASMEND
	;;#ASMSTART
	
             v_fmac_f32 v61, v87, v91 
             
	;;#ASMEND
	;; [unrolled: 5-line block ×4, first 2 shown]
	s_and_b32 s2, s2, vcc_lo
	;;#ASMSTART
	
             v_fmac_f32 v44, v88, v90 
             
	;;#ASMEND
	;;#ASMSTART
	
             v_fmac_f32 v46, v88, v91 
             
	;;#ASMEND
	;; [unrolled: 5-line block ×8, first 2 shown]
	s_waitcnt lgkmcnt(1)
	;;#ASMSTART
	
             v_fmac_f32 v79, v86, v94 
             
	;;#ASMEND
	;;#ASMSTART
	
             v_fmac_f32 v78, v86, v95 
             
	;;#ASMEND
	;; [unrolled: 5-line block ×16, first 2 shown]
	ds_load_b128 v[86:89], v82 offset:4096
	s_waitcnt lgkmcnt(1)
	;;#ASMSTART
	
             v_fmac_f32 v49, v98, v90 
             
	;;#ASMEND
	;;#ASMSTART
	
             v_fmac_f32 v51, v98, v91 
             
	;;#ASMEND
	;; [unrolled: 5-line block ×16, first 2 shown]
	ds_load_b128 v[90:93], v83 offset:20480
	;;#ASMSTART
	
             v_fmac_f32 v67, v98, v94 
             
	;;#ASMEND
	;;#ASMSTART
	
             v_fmac_f32 v69, v98, v95 
             
	;;#ASMEND
	;;#ASMSTART
	
             v_fmac_f32 v64, v98, v96 
             
	;;#ASMEND
	;;#ASMSTART
	
             v_fmac_f32 v65, v98, v97 
             
	;;#ASMEND
	;;#ASMSTART
	
             v_fmac_f32 v54, v99, v94 
             
	;;#ASMEND
	;;#ASMSTART
	
             v_fmac_f32 v55, v99, v95 
             
	;;#ASMEND
	;;#ASMSTART
	
             v_fmac_f32 v52, v99, v96 
             
	;;#ASMEND
	;;#ASMSTART
	
             v_fmac_f32 v53, v99, v97 
             
	;;#ASMEND
	;;#ASMSTART
	
             v_fmac_f32 v39, v100, v94 
             
	;;#ASMEND
	;;#ASMSTART
	
             v_fmac_f32 v38, v100, v95 
             
	;;#ASMEND
	;;#ASMSTART
	
             v_fmac_f32 v36, v100, v96 
             
	;;#ASMEND
	;;#ASMSTART
	
             v_fmac_f32 v37, v100, v97 
             
	;;#ASMEND
	;;#ASMSTART
	
             v_fmac_f32 v22, v101, v94 
             
	;;#ASMEND
	;;#ASMSTART
	
             v_fmac_f32 v23, v101, v95 
             
	;;#ASMEND
	;;#ASMSTART
	
             v_fmac_f32 v26, v101, v96 
             
	;;#ASMEND
	;;#ASMSTART
	
             v_fmac_f32 v16, v101, v97 
             
	;;#ASMEND
	ds_load_b128 v[94:97], v83 offset:20736
	ds_load_b128 v[98:101], v82 offset:4352
	s_waitcnt vmcnt(1)
	v_cndmask_b32_e64 v7, 0, v7, s2
	v_cndmask_b32_e64 v6, 0, v6, s2
	;; [unrolled: 1-line block ×4, first 2 shown]
	v_cmp_gt_i32_e64 s2, s52, v102
	s_waitcnt lgkmcnt(2)
	;;#ASMSTART
	
             v_fmac_f32 v72, v86, v90 
             
	;;#ASMEND
	;;#ASMSTART
	
             v_fmac_f32 v68, v86, v91 
             
	;;#ASMEND
	;; [unrolled: 5-line block ×16, first 2 shown]
	s_waitcnt lgkmcnt(1)
	;;#ASMSTART
	
             v_fmac_f32 v79, v86, v94 
             
	;;#ASMEND
	;;#ASMSTART
	
             v_fmac_f32 v78, v86, v95 
             
	;;#ASMEND
	;; [unrolled: 5-line block ×16, first 2 shown]
	ds_load_b128 v[86:89], v82 offset:4608
	s_waitcnt lgkmcnt(1)
	;;#ASMSTART
	
             v_fmac_f32 v49, v98, v90 
             
	;;#ASMEND
	;;#ASMSTART
	
             v_fmac_f32 v51, v98, v91 
             
	;;#ASMEND
	;;#ASMSTART
	
             v_fmac_f32 v47, v98, v92 
             
	;;#ASMEND
	;;#ASMSTART
	
             v_fmac_f32 v42, v98, v93 
             
	;;#ASMEND
	;;#ASMSTART
	
             v_fmac_f32 v33, v99, v90 
             
	;;#ASMEND
	;;#ASMSTART
	
             v_fmac_f32 v34, v99, v91 
             
	;;#ASMEND
	;;#ASMSTART
	
             v_fmac_f32 v35, v99, v92 
             
	;;#ASMEND
	;;#ASMSTART
	
             v_fmac_f32 v32, v99, v93 
             
	;;#ASMEND
	;;#ASMSTART
	
             v_fmac_f32 v27, v100, v90 
             
	;;#ASMEND
	;;#ASMSTART
	
             v_fmac_f32 v24, v100, v91 
             
	;;#ASMEND
	;;#ASMSTART
	
             v_fmac_f32 v25, v100, v92 
             
	;;#ASMEND
	;;#ASMSTART
	
             v_fmac_f32 v21, v100, v93 
             
	;;#ASMEND
	;;#ASMSTART
	
             v_fmac_f32 v19, v101, v90 
             
	;;#ASMEND
	;;#ASMSTART
	
             v_fmac_f32 v20, v101, v91 
             
	;;#ASMEND
	;;#ASMSTART
	
             v_fmac_f32 v17, v101, v92 
             
	;;#ASMEND
	;;#ASMSTART
	
             v_fmac_f32 v18, v101, v93 
             
	;;#ASMEND
	ds_load_b128 v[90:93], v83 offset:20992
	;;#ASMSTART
	
             v_fmac_f32 v67, v98, v94 
             
	;;#ASMEND
	;;#ASMSTART
	
             v_fmac_f32 v69, v98, v95 
             
	;;#ASMEND
	;; [unrolled: 5-line block ×16, first 2 shown]
	ds_load_b128 v[94:97], v83 offset:21248
	ds_load_b128 v[98:101], v82 offset:4864
	s_waitcnt lgkmcnt(2)
	;;#ASMSTART
	
             v_fmac_f32 v72, v86, v90 
             
	;;#ASMEND
	;;#ASMSTART
	
             v_fmac_f32 v68, v86, v91 
             
	;;#ASMEND
	;; [unrolled: 5-line block ×16, first 2 shown]
	s_waitcnt lgkmcnt(1)
	;;#ASMSTART
	
             v_fmac_f32 v79, v86, v94 
             
	;;#ASMEND
	;;#ASMSTART
	
             v_fmac_f32 v78, v86, v95 
             
	;;#ASMEND
	;; [unrolled: 5-line block ×16, first 2 shown]
	ds_load_b128 v[86:89], v82 offset:5120
	s_waitcnt lgkmcnt(1)
	;;#ASMSTART
	
             v_fmac_f32 v49, v98, v90 
             
	;;#ASMEND
	;;#ASMSTART
	
             v_fmac_f32 v51, v98, v91 
             
	;;#ASMEND
	;;#ASMSTART
	
             v_fmac_f32 v47, v98, v92 
             
	;;#ASMEND
	;;#ASMSTART
	
             v_fmac_f32 v42, v98, v93 
             
	;;#ASMEND
	;;#ASMSTART
	
             v_fmac_f32 v33, v99, v90 
             
	;;#ASMEND
	;;#ASMSTART
	
             v_fmac_f32 v34, v99, v91 
             
	;;#ASMEND
	;;#ASMSTART
	
             v_fmac_f32 v35, v99, v92 
             
	;;#ASMEND
	;;#ASMSTART
	
             v_fmac_f32 v32, v99, v93 
             
	;;#ASMEND
	;;#ASMSTART
	
             v_fmac_f32 v27, v100, v90 
             
	;;#ASMEND
	;;#ASMSTART
	
             v_fmac_f32 v24, v100, v91 
             
	;;#ASMEND
	;;#ASMSTART
	
             v_fmac_f32 v25, v100, v92 
             
	;;#ASMEND
	;;#ASMSTART
	
             v_fmac_f32 v21, v100, v93 
             
	;;#ASMEND
	;;#ASMSTART
	
             v_fmac_f32 v19, v101, v90 
             
	;;#ASMEND
	;;#ASMSTART
	
             v_fmac_f32 v20, v101, v91 
             
	;;#ASMEND
	;;#ASMSTART
	
             v_fmac_f32 v17, v101, v92 
             
	;;#ASMEND
	;;#ASMSTART
	
             v_fmac_f32 v18, v101, v93 
             
	;;#ASMEND
	ds_load_b128 v[90:93], v83 offset:21504
	;;#ASMSTART
	
             v_fmac_f32 v67, v98, v94 
             
	;;#ASMEND
	;;#ASMSTART
	
             v_fmac_f32 v69, v98, v95 
             
	;;#ASMEND
	;; [unrolled: 5-line block ×16, first 2 shown]
	ds_load_b128 v[94:97], v83 offset:21760
	ds_load_b128 v[98:101], v82 offset:5376
	v_cndmask_b32_e64 v13, 0, v13, s3
	v_cndmask_b32_e64 v12, 0, v12, s3
	s_waitcnt lgkmcnt(2)
	;;#ASMSTART
	
             v_fmac_f32 v72, v86, v90 
             
	;;#ASMEND
	;;#ASMSTART
	
             v_fmac_f32 v68, v86, v91 
             
	;;#ASMEND
	;; [unrolled: 5-line block ×16, first 2 shown]
	s_waitcnt lgkmcnt(1)
	;;#ASMSTART
	
             v_fmac_f32 v79, v86, v94 
             
	;;#ASMEND
	;;#ASMSTART
	
             v_fmac_f32 v78, v86, v95 
             
	;;#ASMEND
	;; [unrolled: 5-line block ×16, first 2 shown]
	ds_load_b128 v[86:89], v82 offset:5632
	s_waitcnt lgkmcnt(1)
	;;#ASMSTART
	
             v_fmac_f32 v49, v98, v90 
             
	;;#ASMEND
	;;#ASMSTART
	
             v_fmac_f32 v51, v98, v91 
             
	;;#ASMEND
	;; [unrolled: 5-line block ×16, first 2 shown]
	ds_load_b128 v[90:93], v83 offset:22016
	;;#ASMSTART
	
             v_fmac_f32 v67, v98, v94 
             
	;;#ASMEND
	;;#ASMSTART
	
             v_fmac_f32 v69, v98, v95 
             
	;;#ASMEND
	;; [unrolled: 5-line block ×16, first 2 shown]
	ds_load_b128 v[94:97], v83 offset:22272
	ds_load_b128 v[98:101], v82 offset:5888
	v_cndmask_b32_e64 v15, 0, v15, s3
	v_cndmask_b32_e64 v14, 0, v14, s3
	s_waitcnt lgkmcnt(2)
	;;#ASMSTART
	
             v_fmac_f32 v72, v86, v90 
             
	;;#ASMEND
	;;#ASMSTART
	
             v_fmac_f32 v68, v86, v91 
             
	;;#ASMEND
	;; [unrolled: 5-line block ×16, first 2 shown]
	s_waitcnt lgkmcnt(1)
	;;#ASMSTART
	
             v_fmac_f32 v79, v86, v94 
             
	;;#ASMEND
	;;#ASMSTART
	
             v_fmac_f32 v78, v86, v95 
             
	;;#ASMEND
	;; [unrolled: 5-line block ×16, first 2 shown]
	ds_load_b128 v[86:89], v82 offset:6144
	s_waitcnt lgkmcnt(1)
	;;#ASMSTART
	
             v_fmac_f32 v49, v98, v90 
             
	;;#ASMEND
	;;#ASMSTART
	
             v_fmac_f32 v51, v98, v91 
             
	;;#ASMEND
	;; [unrolled: 5-line block ×16, first 2 shown]
	ds_load_b128 v[90:93], v83 offset:22528
	;;#ASMSTART
	
             v_fmac_f32 v67, v98, v94 
             
	;;#ASMEND
	;;#ASMSTART
	
             v_fmac_f32 v69, v98, v95 
             
	;;#ASMEND
	;; [unrolled: 5-line block ×16, first 2 shown]
	ds_load_b128 v[94:97], v83 offset:22784
	ds_load_b128 v[98:101], v82 offset:6400
	s_waitcnt lgkmcnt(2)
	;;#ASMSTART
	
             v_fmac_f32 v72, v86, v90 
             
	;;#ASMEND
	;;#ASMSTART
	
             v_fmac_f32 v68, v86, v91 
             
	;;#ASMEND
	;; [unrolled: 5-line block ×16, first 2 shown]
	s_waitcnt lgkmcnt(1)
	;;#ASMSTART
	
             v_fmac_f32 v79, v86, v94 
             
	;;#ASMEND
	;;#ASMSTART
	
             v_fmac_f32 v78, v86, v95 
             
	;;#ASMEND
	;; [unrolled: 5-line block ×16, first 2 shown]
	ds_load_b128 v[85:88], v82 offset:6656
	s_waitcnt lgkmcnt(1)
	;;#ASMSTART
	
             v_fmac_f32 v49, v98, v90 
             
	;;#ASMEND
	;;#ASMSTART
	
             v_fmac_f32 v51, v98, v91 
             
	;;#ASMEND
	;; [unrolled: 5-line block ×16, first 2 shown]
	ds_load_b128 v[89:92], v83 offset:23040
	;;#ASMSTART
	
             v_fmac_f32 v67, v98, v94 
             
	;;#ASMEND
	;;#ASMSTART
	
             v_fmac_f32 v69, v98, v95 
             
	;;#ASMEND
	;;#ASMSTART
	
             v_fmac_f32 v64, v98, v96 
             
	;;#ASMEND
	;;#ASMSTART
	
             v_fmac_f32 v65, v98, v97 
             
	;;#ASMEND
	;;#ASMSTART
	
             v_fmac_f32 v54, v99, v94 
             
	;;#ASMEND
	;;#ASMSTART
	
             v_fmac_f32 v55, v99, v95 
             
	;;#ASMEND
	;;#ASMSTART
	
             v_fmac_f32 v52, v99, v96 
             
	;;#ASMEND
	;;#ASMSTART
	
             v_fmac_f32 v53, v99, v97 
             
	;;#ASMEND
	;;#ASMSTART
	
             v_fmac_f32 v39, v100, v94 
             
	;;#ASMEND
	;;#ASMSTART
	
             v_fmac_f32 v38, v100, v95 
             
	;;#ASMEND
	;;#ASMSTART
	
             v_fmac_f32 v36, v100, v96 
             
	;;#ASMEND
	;;#ASMSTART
	
             v_fmac_f32 v37, v100, v97 
             
	;;#ASMEND
	;;#ASMSTART
	
             v_fmac_f32 v22, v101, v94 
             
	;;#ASMEND
	;;#ASMSTART
	
             v_fmac_f32 v23, v101, v95 
             
	;;#ASMEND
	;;#ASMSTART
	
             v_fmac_f32 v26, v101, v96 
             
	;;#ASMEND
	;;#ASMSTART
	
             v_fmac_f32 v16, v101, v97 
             
	;;#ASMEND
	ds_load_b128 v[93:96], v83 offset:23296
	ds_load_b128 v[97:100], v82 offset:6912
	s_and_b32 vcc_lo, s2, vcc_lo
	s_waitcnt lgkmcnt(2)
	;;#ASMSTART
	
             v_fmac_f32 v72, v85, v89 
             
	;;#ASMEND
	;;#ASMSTART
	
             v_fmac_f32 v68, v85, v90 
             
	;;#ASMEND
	;; [unrolled: 5-line block ×16, first 2 shown]
	s_waitcnt lgkmcnt(1)
	;;#ASMSTART
	
             v_fmac_f32 v79, v85, v93 
             
	;;#ASMEND
	;;#ASMSTART
	
             v_fmac_f32 v78, v85, v94 
             
	;;#ASMEND
	;; [unrolled: 5-line block ×16, first 2 shown]
	ds_load_b128 v[85:88], v82 offset:7168
	s_waitcnt lgkmcnt(1)
	;;#ASMSTART
	
             v_fmac_f32 v49, v97, v89 
             
	;;#ASMEND
	;;#ASMSTART
	
             v_fmac_f32 v51, v97, v90 
             
	;;#ASMEND
	;; [unrolled: 5-line block ×16, first 2 shown]
	ds_load_b128 v[89:92], v83 offset:23552
	;;#ASMSTART
	
             v_fmac_f32 v67, v97, v93 
             
	;;#ASMEND
	;;#ASMSTART
	
             v_fmac_f32 v69, v97, v94 
             
	;;#ASMEND
	;; [unrolled: 5-line block ×16, first 2 shown]
	ds_load_b128 v[93:96], v83 offset:23808
	ds_load_b128 v[97:100], v82 offset:7424
	s_waitcnt vmcnt(0)
	v_dual_cndmask_b32 v101, 0, v3 :: v_dual_cndmask_b32 v102, 0, v2
	s_waitcnt lgkmcnt(2)
	;;#ASMSTART
	
             v_fmac_f32 v72, v85, v89 
             
	;;#ASMEND
	;;#ASMSTART
	
             v_fmac_f32 v68, v85, v90 
             
	;;#ASMEND
	;; [unrolled: 5-line block ×16, first 2 shown]
	s_waitcnt lgkmcnt(1)
	;;#ASMSTART
	
             v_fmac_f32 v79, v85, v93 
             
	;;#ASMEND
	;;#ASMSTART
	
             v_fmac_f32 v78, v85, v94 
             
	;;#ASMEND
	;; [unrolled: 5-line block ×16, first 2 shown]
	ds_load_b128 v[85:88], v82 offset:7680
	s_waitcnt lgkmcnt(1)
	;;#ASMSTART
	
             v_fmac_f32 v49, v97, v89 
             
	;;#ASMEND
	;;#ASMSTART
	
             v_fmac_f32 v51, v97, v90 
             
	;;#ASMEND
	;; [unrolled: 5-line block ×16, first 2 shown]
	ds_load_b128 v[89:92], v83 offset:24064
	;;#ASMSTART
	
             v_fmac_f32 v67, v97, v93 
             
	;;#ASMEND
	;;#ASMSTART
	
             v_fmac_f32 v69, v97, v94 
             
	;;#ASMEND
	;; [unrolled: 5-line block ×16, first 2 shown]
	ds_load_b128 v[93:96], v83 offset:24320
	v_dual_cndmask_b32 v97, 0, v1 :: v_dual_cndmask_b32 v98, 0, v0
	ds_load_b128 v[0:3], v82 offset:7936
	s_waitcnt lgkmcnt(2)
	;;#ASMSTART
	
             v_fmac_f32 v72, v85, v89 
             
	;;#ASMEND
	;;#ASMSTART
	
             v_fmac_f32 v68, v85, v90 
             
	;;#ASMEND
	;; [unrolled: 5-line block ×16, first 2 shown]
	s_waitcnt lgkmcnt(1)
	;;#ASMSTART
	
             v_fmac_f32 v79, v85, v93 
             
	;;#ASMEND
	;;#ASMSTART
	
             v_fmac_f32 v78, v85, v94 
             
	;;#ASMEND
	;; [unrolled: 5-line block ×16, first 2 shown]
	s_waitcnt lgkmcnt(0)
	;;#ASMSTART
	
             v_fmac_f32 v49, v0, v89 
             
	;;#ASMEND
	;;#ASMSTART
	
             v_fmac_f32 v51, v0, v90 
             
	;;#ASMEND
	;; [unrolled: 5-line block ×32, first 2 shown]
	ds_store_2addr_stride64_b32 v84, v12, v13 offset0:32 offset1:34
	ds_store_2addr_stride64_b32 v84, v14, v15 offset0:36 offset1:38
	;; [unrolled: 1-line block ×8, first 2 shown]
	s_waitcnt lgkmcnt(0)
	s_barrier
	ds_load_b128 v[0:3], v82 offset:8192
	ds_load_b128 v[4:7], v83 offset:24576
	;; [unrolled: 1-line block ×4, first 2 shown]
	s_waitcnt lgkmcnt(2)
	;;#ASMSTART
	
             v_fmac_f32 v72, v0, v4 
             
	;;#ASMEND
	;;#ASMSTART
	
             v_fmac_f32 v68, v0, v5 
             
	;;#ASMEND
	;; [unrolled: 5-line block ×16, first 2 shown]
	s_waitcnt lgkmcnt(1)
	;;#ASMSTART
	
             v_fmac_f32 v79, v0, v8 
             
	;;#ASMEND
	;;#ASMSTART
	
             v_fmac_f32 v78, v0, v9 
             
	;;#ASMEND
	;; [unrolled: 5-line block ×16, first 2 shown]
	ds_load_b128 v[0:3], v82 offset:8704
	s_waitcnt lgkmcnt(1)
	;;#ASMSTART
	
             v_fmac_f32 v49, v12, v4 
             
	;;#ASMEND
	;;#ASMSTART
	
             v_fmac_f32 v51, v12, v5 
             
	;;#ASMEND
	;; [unrolled: 5-line block ×16, first 2 shown]
	ds_load_b128 v[4:7], v83 offset:25088
	;;#ASMSTART
	
             v_fmac_f32 v67, v12, v8 
             
	;;#ASMEND
	;;#ASMSTART
	
             v_fmac_f32 v69, v12, v9 
             
	;;#ASMEND
	;; [unrolled: 5-line block ×16, first 2 shown]
	ds_load_b128 v[8:11], v83 offset:25344
	ds_load_b128 v[12:15], v82 offset:8960
	s_waitcnt lgkmcnt(2)
	;;#ASMSTART
	
             v_fmac_f32 v72, v0, v4 
             
	;;#ASMEND
	;;#ASMSTART
	
             v_fmac_f32 v68, v0, v5 
             
	;;#ASMEND
	;; [unrolled: 5-line block ×16, first 2 shown]
	s_waitcnt lgkmcnt(1)
	;;#ASMSTART
	
             v_fmac_f32 v79, v0, v8 
             
	;;#ASMEND
	;;#ASMSTART
	
             v_fmac_f32 v78, v0, v9 
             
	;;#ASMEND
	;; [unrolled: 5-line block ×16, first 2 shown]
	ds_load_b128 v[0:3], v82 offset:9216
	s_waitcnt lgkmcnt(1)
	;;#ASMSTART
	
             v_fmac_f32 v49, v12, v4 
             
	;;#ASMEND
	;;#ASMSTART
	
             v_fmac_f32 v51, v12, v5 
             
	;;#ASMEND
	;; [unrolled: 5-line block ×16, first 2 shown]
	ds_load_b128 v[4:7], v83 offset:25600
	;;#ASMSTART
	
             v_fmac_f32 v67, v12, v8 
             
	;;#ASMEND
	;;#ASMSTART
	
             v_fmac_f32 v69, v12, v9 
             
	;;#ASMEND
	;; [unrolled: 5-line block ×16, first 2 shown]
	ds_load_b128 v[8:11], v83 offset:25856
	ds_load_b128 v[12:15], v82 offset:9472
	s_waitcnt lgkmcnt(2)
	;;#ASMSTART
	
             v_fmac_f32 v72, v0, v4 
             
	;;#ASMEND
	;;#ASMSTART
	
             v_fmac_f32 v68, v0, v5 
             
	;;#ASMEND
	;; [unrolled: 5-line block ×16, first 2 shown]
	s_waitcnt lgkmcnt(1)
	;;#ASMSTART
	
             v_fmac_f32 v79, v0, v8 
             
	;;#ASMEND
	;;#ASMSTART
	
             v_fmac_f32 v78, v0, v9 
             
	;;#ASMEND
	;; [unrolled: 5-line block ×16, first 2 shown]
	ds_load_b128 v[0:3], v82 offset:9728
	s_waitcnt lgkmcnt(1)
	;;#ASMSTART
	
             v_fmac_f32 v49, v12, v4 
             
	;;#ASMEND
	;;#ASMSTART
	
             v_fmac_f32 v51, v12, v5 
             
	;;#ASMEND
	;; [unrolled: 5-line block ×16, first 2 shown]
	ds_load_b128 v[4:7], v83 offset:26112
	;;#ASMSTART
	
             v_fmac_f32 v67, v12, v8 
             
	;;#ASMEND
	;;#ASMSTART
	
             v_fmac_f32 v69, v12, v9 
             
	;;#ASMEND
	;; [unrolled: 5-line block ×16, first 2 shown]
	ds_load_b128 v[8:11], v83 offset:26368
	ds_load_b128 v[12:15], v82 offset:9984
	s_waitcnt lgkmcnt(2)
	;;#ASMSTART
	
             v_fmac_f32 v72, v0, v4 
             
	;;#ASMEND
	;;#ASMSTART
	
             v_fmac_f32 v68, v0, v5 
             
	;;#ASMEND
	;; [unrolled: 5-line block ×16, first 2 shown]
	s_waitcnt lgkmcnt(1)
	;;#ASMSTART
	
             v_fmac_f32 v79, v0, v8 
             
	;;#ASMEND
	;;#ASMSTART
	
             v_fmac_f32 v78, v0, v9 
             
	;;#ASMEND
	;; [unrolled: 5-line block ×16, first 2 shown]
	ds_load_b128 v[0:3], v82 offset:10240
	s_waitcnt lgkmcnt(1)
	;;#ASMSTART
	
             v_fmac_f32 v49, v12, v4 
             
	;;#ASMEND
	;;#ASMSTART
	
             v_fmac_f32 v51, v12, v5 
             
	;;#ASMEND
	;; [unrolled: 5-line block ×16, first 2 shown]
	ds_load_b128 v[4:7], v83 offset:26624
	;;#ASMSTART
	
             v_fmac_f32 v67, v12, v8 
             
	;;#ASMEND
	;;#ASMSTART
	
             v_fmac_f32 v69, v12, v9 
             
	;;#ASMEND
	;; [unrolled: 5-line block ×16, first 2 shown]
	ds_load_b128 v[8:11], v83 offset:26880
	ds_load_b128 v[12:15], v82 offset:10496
	s_waitcnt lgkmcnt(2)
	;;#ASMSTART
	
             v_fmac_f32 v72, v0, v4 
             
	;;#ASMEND
	;;#ASMSTART
	
             v_fmac_f32 v68, v0, v5 
             
	;;#ASMEND
	;;#ASMSTART
	
             v_fmac_f32 v70, v0, v6 
             
	;;#ASMEND
	;;#ASMSTART
	
             v_fmac_f32 v66, v0, v7 
             
	;;#ASMEND
	;;#ASMSTART
	
             v_fmac_f32 v57, v1, v4 
             
	;;#ASMEND
	;;#ASMSTART
	
             v_fmac_f32 v61, v1, v5 
             
	;;#ASMEND
	;;#ASMSTART
	
             v_fmac_f32 v58, v1, v6 
             
	;;#ASMEND
	;;#ASMSTART
	
             v_fmac_f32 v56, v1, v7 
             
	;;#ASMEND
	;;#ASMSTART
	
             v_fmac_f32 v44, v2, v4 
             
	;;#ASMEND
	;;#ASMSTART
	
             v_fmac_f32 v46, v2, v5 
             
	;;#ASMEND
	;;#ASMSTART
	
             v_fmac_f32 v48, v2, v6 
             
	;;#ASMEND
	;;#ASMSTART
	
             v_fmac_f32 v43, v2, v7 
             
	;;#ASMEND
	;;#ASMSTART
	
             v_fmac_f32 v31, v3, v4 
             
	;;#ASMEND
	;;#ASMSTART
	
             v_fmac_f32 v29, v3, v5 
             
	;;#ASMEND
	;;#ASMSTART
	
             v_fmac_f32 v30, v3, v6 
             
	;;#ASMEND
	;;#ASMSTART
	
             v_fmac_f32 v28, v3, v7 
             
	;;#ASMEND
	s_waitcnt lgkmcnt(1)
	;;#ASMSTART
	
             v_fmac_f32 v79, v0, v8 
             
	;;#ASMEND
	;;#ASMSTART
	
             v_fmac_f32 v78, v0, v9 
             
	;;#ASMEND
	;; [unrolled: 5-line block ×16, first 2 shown]
	ds_load_b128 v[0:3], v82 offset:10752
	s_waitcnt lgkmcnt(1)
	;;#ASMSTART
	
             v_fmac_f32 v49, v12, v4 
             
	;;#ASMEND
	;;#ASMSTART
	
             v_fmac_f32 v51, v12, v5 
             
	;;#ASMEND
	;; [unrolled: 5-line block ×16, first 2 shown]
	ds_load_b128 v[4:7], v83 offset:27136
	;;#ASMSTART
	
             v_fmac_f32 v67, v12, v8 
             
	;;#ASMEND
	;;#ASMSTART
	
             v_fmac_f32 v69, v12, v9 
             
	;;#ASMEND
	;;#ASMSTART
	
             v_fmac_f32 v64, v12, v10 
             
	;;#ASMEND
	;;#ASMSTART
	
             v_fmac_f32 v65, v12, v11 
             
	;;#ASMEND
	;;#ASMSTART
	
             v_fmac_f32 v54, v13, v8 
             
	;;#ASMEND
	;;#ASMSTART
	
             v_fmac_f32 v55, v13, v9 
             
	;;#ASMEND
	;;#ASMSTART
	
             v_fmac_f32 v52, v13, v10 
             
	;;#ASMEND
	;;#ASMSTART
	
             v_fmac_f32 v53, v13, v11 
             
	;;#ASMEND
	;;#ASMSTART
	
             v_fmac_f32 v39, v14, v8 
             
	;;#ASMEND
	;;#ASMSTART
	
             v_fmac_f32 v38, v14, v9 
             
	;;#ASMEND
	;;#ASMSTART
	
             v_fmac_f32 v36, v14, v10 
             
	;;#ASMEND
	;;#ASMSTART
	
             v_fmac_f32 v37, v14, v11 
             
	;;#ASMEND
	;;#ASMSTART
	
             v_fmac_f32 v22, v15, v8 
             
	;;#ASMEND
	;;#ASMSTART
	
             v_fmac_f32 v23, v15, v9 
             
	;;#ASMEND
	;;#ASMSTART
	
             v_fmac_f32 v26, v15, v10 
             
	;;#ASMEND
	;;#ASMSTART
	
             v_fmac_f32 v16, v15, v11 
             
	;;#ASMEND
	ds_load_b128 v[8:11], v83 offset:27392
	ds_load_b128 v[12:15], v82 offset:11008
	s_waitcnt lgkmcnt(2)
	;;#ASMSTART
	
             v_fmac_f32 v72, v0, v4 
             
	;;#ASMEND
	;;#ASMSTART
	
             v_fmac_f32 v68, v0, v5 
             
	;;#ASMEND
	;; [unrolled: 5-line block ×16, first 2 shown]
	s_waitcnt lgkmcnt(1)
	;;#ASMSTART
	
             v_fmac_f32 v79, v0, v8 
             
	;;#ASMEND
	;;#ASMSTART
	
             v_fmac_f32 v78, v0, v9 
             
	;;#ASMEND
	;; [unrolled: 5-line block ×16, first 2 shown]
	ds_load_b128 v[0:3], v82 offset:11264
	s_waitcnt lgkmcnt(1)
	;;#ASMSTART
	
             v_fmac_f32 v49, v12, v4 
             
	;;#ASMEND
	;;#ASMSTART
	
             v_fmac_f32 v51, v12, v5 
             
	;;#ASMEND
	;; [unrolled: 5-line block ×16, first 2 shown]
	ds_load_b128 v[4:7], v83 offset:27648
	;;#ASMSTART
	
             v_fmac_f32 v67, v12, v8 
             
	;;#ASMEND
	;;#ASMSTART
	
             v_fmac_f32 v69, v12, v9 
             
	;;#ASMEND
	;; [unrolled: 5-line block ×16, first 2 shown]
	ds_load_b128 v[8:11], v83 offset:27904
	ds_load_b128 v[12:15], v82 offset:11520
	s_waitcnt lgkmcnt(2)
	;;#ASMSTART
	
             v_fmac_f32 v72, v0, v4 
             
	;;#ASMEND
	;;#ASMSTART
	
             v_fmac_f32 v68, v0, v5 
             
	;;#ASMEND
	;; [unrolled: 5-line block ×16, first 2 shown]
	s_waitcnt lgkmcnt(1)
	;;#ASMSTART
	
             v_fmac_f32 v79, v0, v8 
             
	;;#ASMEND
	;;#ASMSTART
	
             v_fmac_f32 v78, v0, v9 
             
	;;#ASMEND
	;; [unrolled: 5-line block ×16, first 2 shown]
	ds_load_b128 v[0:3], v82 offset:11776
	s_waitcnt lgkmcnt(1)
	;;#ASMSTART
	
             v_fmac_f32 v49, v12, v4 
             
	;;#ASMEND
	;;#ASMSTART
	
             v_fmac_f32 v51, v12, v5 
             
	;;#ASMEND
	;; [unrolled: 5-line block ×16, first 2 shown]
	ds_load_b128 v[4:7], v83 offset:28160
	;;#ASMSTART
	
             v_fmac_f32 v67, v12, v8 
             
	;;#ASMEND
	;;#ASMSTART
	
             v_fmac_f32 v69, v12, v9 
             
	;;#ASMEND
	;; [unrolled: 5-line block ×16, first 2 shown]
	ds_load_b128 v[8:11], v83 offset:28416
	ds_load_b128 v[12:15], v82 offset:12032
	s_waitcnt lgkmcnt(2)
	;;#ASMSTART
	
             v_fmac_f32 v72, v0, v4 
             
	;;#ASMEND
	;;#ASMSTART
	
             v_fmac_f32 v68, v0, v5 
             
	;;#ASMEND
	;; [unrolled: 5-line block ×16, first 2 shown]
	s_waitcnt lgkmcnt(1)
	;;#ASMSTART
	
             v_fmac_f32 v79, v0, v8 
             
	;;#ASMEND
	;;#ASMSTART
	
             v_fmac_f32 v78, v0, v9 
             
	;;#ASMEND
	;; [unrolled: 5-line block ×16, first 2 shown]
	ds_load_b128 v[0:3], v82 offset:12288
	s_waitcnt lgkmcnt(1)
	;;#ASMSTART
	
             v_fmac_f32 v49, v12, v4 
             
	;;#ASMEND
	;;#ASMSTART
	
             v_fmac_f32 v51, v12, v5 
             
	;;#ASMEND
	;; [unrolled: 5-line block ×16, first 2 shown]
	ds_load_b128 v[4:7], v83 offset:28672
	;;#ASMSTART
	
             v_fmac_f32 v67, v12, v8 
             
	;;#ASMEND
	;;#ASMSTART
	
             v_fmac_f32 v69, v12, v9 
             
	;;#ASMEND
	;; [unrolled: 5-line block ×16, first 2 shown]
	ds_load_b128 v[8:11], v83 offset:28928
	ds_load_b128 v[12:15], v82 offset:12544
	s_waitcnt lgkmcnt(2)
	;;#ASMSTART
	
             v_fmac_f32 v72, v0, v4 
             
	;;#ASMEND
	;;#ASMSTART
	
             v_fmac_f32 v68, v0, v5 
             
	;;#ASMEND
	;; [unrolled: 5-line block ×16, first 2 shown]
	s_waitcnt lgkmcnt(1)
	;;#ASMSTART
	
             v_fmac_f32 v79, v0, v8 
             
	;;#ASMEND
	;;#ASMSTART
	
             v_fmac_f32 v78, v0, v9 
             
	;;#ASMEND
	;; [unrolled: 5-line block ×16, first 2 shown]
	ds_load_b128 v[0:3], v82 offset:12800
	s_waitcnt lgkmcnt(1)
	;;#ASMSTART
	
             v_fmac_f32 v49, v12, v4 
             
	;;#ASMEND
	;;#ASMSTART
	
             v_fmac_f32 v51, v12, v5 
             
	;;#ASMEND
	;; [unrolled: 5-line block ×16, first 2 shown]
	ds_load_b128 v[4:7], v83 offset:29184
	;;#ASMSTART
	
             v_fmac_f32 v67, v12, v8 
             
	;;#ASMEND
	;;#ASMSTART
	
             v_fmac_f32 v69, v12, v9 
             
	;;#ASMEND
	;; [unrolled: 5-line block ×16, first 2 shown]
	ds_load_b128 v[8:11], v83 offset:29440
	ds_load_b128 v[12:15], v82 offset:13056
	s_waitcnt lgkmcnt(2)
	;;#ASMSTART
	
             v_fmac_f32 v72, v0, v4 
             
	;;#ASMEND
	;;#ASMSTART
	
             v_fmac_f32 v68, v0, v5 
             
	;;#ASMEND
	;; [unrolled: 5-line block ×16, first 2 shown]
	s_waitcnt lgkmcnt(1)
	;;#ASMSTART
	
             v_fmac_f32 v79, v0, v8 
             
	;;#ASMEND
	;;#ASMSTART
	
             v_fmac_f32 v78, v0, v9 
             
	;;#ASMEND
	;; [unrolled: 5-line block ×16, first 2 shown]
	ds_load_b128 v[0:3], v82 offset:13312
	s_waitcnt lgkmcnt(1)
	;;#ASMSTART
	
             v_fmac_f32 v49, v12, v4 
             
	;;#ASMEND
	;;#ASMSTART
	
             v_fmac_f32 v51, v12, v5 
             
	;;#ASMEND
	;; [unrolled: 5-line block ×16, first 2 shown]
	ds_load_b128 v[4:7], v83 offset:29696
	;;#ASMSTART
	
             v_fmac_f32 v67, v12, v8 
             
	;;#ASMEND
	;;#ASMSTART
	
             v_fmac_f32 v69, v12, v9 
             
	;;#ASMEND
	;; [unrolled: 5-line block ×16, first 2 shown]
	ds_load_b128 v[8:11], v83 offset:29952
	ds_load_b128 v[12:15], v82 offset:13568
	s_waitcnt lgkmcnt(2)
	;;#ASMSTART
	
             v_fmac_f32 v72, v0, v4 
             
	;;#ASMEND
	;;#ASMSTART
	
             v_fmac_f32 v68, v0, v5 
             
	;;#ASMEND
	;; [unrolled: 5-line block ×16, first 2 shown]
	s_waitcnt lgkmcnt(1)
	;;#ASMSTART
	
             v_fmac_f32 v79, v0, v8 
             
	;;#ASMEND
	;;#ASMSTART
	
             v_fmac_f32 v78, v0, v9 
             
	;;#ASMEND
	;; [unrolled: 5-line block ×16, first 2 shown]
	ds_load_b128 v[0:3], v82 offset:13824
	s_waitcnt lgkmcnt(1)
	;;#ASMSTART
	
             v_fmac_f32 v49, v12, v4 
             
	;;#ASMEND
	;;#ASMSTART
	
             v_fmac_f32 v51, v12, v5 
             
	;;#ASMEND
	;; [unrolled: 5-line block ×16, first 2 shown]
	ds_load_b128 v[4:7], v83 offset:30208
	;;#ASMSTART
	
             v_fmac_f32 v67, v12, v8 
             
	;;#ASMEND
	;;#ASMSTART
	
             v_fmac_f32 v69, v12, v9 
             
	;;#ASMEND
	;;#ASMSTART
	
             v_fmac_f32 v64, v12, v10 
             
	;;#ASMEND
	;;#ASMSTART
	
             v_fmac_f32 v65, v12, v11 
             
	;;#ASMEND
	;;#ASMSTART
	
             v_fmac_f32 v54, v13, v8 
             
	;;#ASMEND
	;;#ASMSTART
	
             v_fmac_f32 v55, v13, v9 
             
	;;#ASMEND
	;;#ASMSTART
	
             v_fmac_f32 v52, v13, v10 
             
	;;#ASMEND
	;;#ASMSTART
	
             v_fmac_f32 v53, v13, v11 
             
	;;#ASMEND
	;;#ASMSTART
	
             v_fmac_f32 v39, v14, v8 
             
	;;#ASMEND
	;;#ASMSTART
	
             v_fmac_f32 v38, v14, v9 
             
	;;#ASMEND
	;;#ASMSTART
	
             v_fmac_f32 v36, v14, v10 
             
	;;#ASMEND
	;;#ASMSTART
	
             v_fmac_f32 v37, v14, v11 
             
	;;#ASMEND
	;;#ASMSTART
	
             v_fmac_f32 v22, v15, v8 
             
	;;#ASMEND
	;;#ASMSTART
	
             v_fmac_f32 v23, v15, v9 
             
	;;#ASMEND
	;;#ASMSTART
	
             v_fmac_f32 v26, v15, v10 
             
	;;#ASMEND
	;;#ASMSTART
	
             v_fmac_f32 v16, v15, v11 
             
	;;#ASMEND
	ds_load_b128 v[8:11], v83 offset:30464
	ds_load_b128 v[12:15], v82 offset:14080
	s_waitcnt lgkmcnt(2)
	;;#ASMSTART
	
             v_fmac_f32 v72, v0, v4 
             
	;;#ASMEND
	;;#ASMSTART
	
             v_fmac_f32 v68, v0, v5 
             
	;;#ASMEND
	;; [unrolled: 5-line block ×16, first 2 shown]
	s_waitcnt lgkmcnt(1)
	;;#ASMSTART
	
             v_fmac_f32 v79, v0, v8 
             
	;;#ASMEND
	;;#ASMSTART
	
             v_fmac_f32 v78, v0, v9 
             
	;;#ASMEND
	;;#ASMSTART
	
             v_fmac_f32 v76, v0, v10 
             
	;;#ASMEND
	;;#ASMSTART
	
             v_fmac_f32 v77, v0, v11 
             
	;;#ASMEND
	;;#ASMSTART
	
             v_fmac_f32 v74, v1, v8 
             
	;;#ASMEND
	;;#ASMSTART
	
             v_fmac_f32 v75, v1, v9 
             
	;;#ASMEND
	;;#ASMSTART
	
             v_fmac_f32 v71, v1, v10 
             
	;;#ASMEND
	;;#ASMSTART
	
             v_fmac_f32 v73, v1, v11 
             
	;;#ASMEND
	;;#ASMSTART
	
             v_fmac_f32 v62, v2, v8 
             
	;;#ASMEND
	;;#ASMSTART
	
             v_fmac_f32 v63, v2, v9 
             
	;;#ASMEND
	;;#ASMSTART
	
             v_fmac_f32 v59, v2, v10 
             
	;;#ASMEND
	;;#ASMSTART
	
             v_fmac_f32 v60, v2, v11 
             
	;;#ASMEND
	;;#ASMSTART
	
             v_fmac_f32 v50, v3, v8 
             
	;;#ASMEND
	;;#ASMSTART
	
             v_fmac_f32 v45, v3, v9 
             
	;;#ASMEND
	;;#ASMSTART
	
             v_fmac_f32 v40, v3, v10 
             
	;;#ASMEND
	;;#ASMSTART
	
             v_fmac_f32 v41, v3, v11 
             
	;;#ASMEND
	ds_load_b128 v[0:3], v82 offset:14336
	s_waitcnt lgkmcnt(1)
	;;#ASMSTART
	
             v_fmac_f32 v49, v12, v4 
             
	;;#ASMEND
	;;#ASMSTART
	
             v_fmac_f32 v51, v12, v5 
             
	;;#ASMEND
	;; [unrolled: 5-line block ×16, first 2 shown]
	ds_load_b128 v[4:7], v83 offset:30720
	;;#ASMSTART
	
             v_fmac_f32 v67, v12, v8 
             
	;;#ASMEND
	;;#ASMSTART
	
             v_fmac_f32 v69, v12, v9 
             
	;;#ASMEND
	;; [unrolled: 5-line block ×16, first 2 shown]
	ds_load_b128 v[8:11], v83 offset:30976
	ds_load_b128 v[12:15], v82 offset:14592
	s_waitcnt lgkmcnt(2)
	;;#ASMSTART
	
             v_fmac_f32 v72, v0, v4 
             
	;;#ASMEND
	;;#ASMSTART
	
             v_fmac_f32 v68, v0, v5 
             
	;;#ASMEND
	;; [unrolled: 5-line block ×16, first 2 shown]
	s_waitcnt lgkmcnt(1)
	;;#ASMSTART
	
             v_fmac_f32 v79, v0, v8 
             
	;;#ASMEND
	;;#ASMSTART
	
             v_fmac_f32 v78, v0, v9 
             
	;;#ASMEND
	;; [unrolled: 5-line block ×16, first 2 shown]
	ds_load_b128 v[0:3], v82 offset:14848
	s_waitcnt lgkmcnt(1)
	;;#ASMSTART
	
             v_fmac_f32 v49, v12, v4 
             
	;;#ASMEND
	;;#ASMSTART
	
             v_fmac_f32 v51, v12, v5 
             
	;;#ASMEND
	;; [unrolled: 5-line block ×16, first 2 shown]
	ds_load_b128 v[4:7], v83 offset:31232
	;;#ASMSTART
	
             v_fmac_f32 v67, v12, v8 
             
	;;#ASMEND
	;;#ASMSTART
	
             v_fmac_f32 v69, v12, v9 
             
	;;#ASMEND
	;;#ASMSTART
	
             v_fmac_f32 v64, v12, v10 
             
	;;#ASMEND
	;;#ASMSTART
	
             v_fmac_f32 v65, v12, v11 
             
	;;#ASMEND
	;;#ASMSTART
	
             v_fmac_f32 v54, v13, v8 
             
	;;#ASMEND
	;;#ASMSTART
	
             v_fmac_f32 v55, v13, v9 
             
	;;#ASMEND
	;;#ASMSTART
	
             v_fmac_f32 v52, v13, v10 
             
	;;#ASMEND
	;;#ASMSTART
	
             v_fmac_f32 v53, v13, v11 
             
	;;#ASMEND
	;;#ASMSTART
	
             v_fmac_f32 v39, v14, v8 
             
	;;#ASMEND
	;;#ASMSTART
	
             v_fmac_f32 v38, v14, v9 
             
	;;#ASMEND
	;;#ASMSTART
	
             v_fmac_f32 v36, v14, v10 
             
	;;#ASMEND
	;;#ASMSTART
	
             v_fmac_f32 v37, v14, v11 
             
	;;#ASMEND
	;;#ASMSTART
	
             v_fmac_f32 v22, v15, v8 
             
	;;#ASMEND
	;;#ASMSTART
	
             v_fmac_f32 v23, v15, v9 
             
	;;#ASMEND
	;;#ASMSTART
	
             v_fmac_f32 v26, v15, v10 
             
	;;#ASMEND
	;;#ASMSTART
	
             v_fmac_f32 v16, v15, v11 
             
	;;#ASMEND
	ds_load_b128 v[8:11], v83 offset:31488
	ds_load_b128 v[12:15], v82 offset:15104
	s_waitcnt lgkmcnt(2)
	;;#ASMSTART
	
             v_fmac_f32 v72, v0, v4 
             
	;;#ASMEND
	;;#ASMSTART
	
             v_fmac_f32 v68, v0, v5 
             
	;;#ASMEND
	;;#ASMSTART
	
             v_fmac_f32 v70, v0, v6 
             
	;;#ASMEND
	;;#ASMSTART
	
             v_fmac_f32 v66, v0, v7 
             
	;;#ASMEND
	;;#ASMSTART
	
             v_fmac_f32 v57, v1, v4 
             
	;;#ASMEND
	;;#ASMSTART
	
             v_fmac_f32 v61, v1, v5 
             
	;;#ASMEND
	;;#ASMSTART
	
             v_fmac_f32 v58, v1, v6 
             
	;;#ASMEND
	;;#ASMSTART
	
             v_fmac_f32 v56, v1, v7 
             
	;;#ASMEND
	;;#ASMSTART
	
             v_fmac_f32 v44, v2, v4 
             
	;;#ASMEND
	;;#ASMSTART
	
             v_fmac_f32 v46, v2, v5 
             
	;;#ASMEND
	;;#ASMSTART
	
             v_fmac_f32 v48, v2, v6 
             
	;;#ASMEND
	;;#ASMSTART
	
             v_fmac_f32 v43, v2, v7 
             
	;;#ASMEND
	;;#ASMSTART
	
             v_fmac_f32 v31, v3, v4 
             
	;;#ASMEND
	;;#ASMSTART
	
             v_fmac_f32 v29, v3, v5 
             
	;;#ASMEND
	;;#ASMSTART
	
             v_fmac_f32 v30, v3, v6 
             
	;;#ASMEND
	;;#ASMSTART
	
             v_fmac_f32 v28, v3, v7 
             
	;;#ASMEND
	s_waitcnt lgkmcnt(1)
	;;#ASMSTART
	
             v_fmac_f32 v79, v0, v8 
             
	;;#ASMEND
	;;#ASMSTART
	
             v_fmac_f32 v78, v0, v9 
             
	;;#ASMEND
	;; [unrolled: 5-line block ×16, first 2 shown]
	ds_load_b128 v[0:3], v82 offset:15360
	s_waitcnt lgkmcnt(1)
	;;#ASMSTART
	
             v_fmac_f32 v49, v12, v4 
             
	;;#ASMEND
	;;#ASMSTART
	
             v_fmac_f32 v51, v12, v5 
             
	;;#ASMEND
	;;#ASMSTART
	
             v_fmac_f32 v47, v12, v6 
             
	;;#ASMEND
	;;#ASMSTART
	
             v_fmac_f32 v42, v12, v7 
             
	;;#ASMEND
	;;#ASMSTART
	
             v_fmac_f32 v33, v13, v4 
             
	;;#ASMEND
	;;#ASMSTART
	
             v_fmac_f32 v34, v13, v5 
             
	;;#ASMEND
	;;#ASMSTART
	
             v_fmac_f32 v35, v13, v6 
             
	;;#ASMEND
	;;#ASMSTART
	
             v_fmac_f32 v32, v13, v7 
             
	;;#ASMEND
	;;#ASMSTART
	
             v_fmac_f32 v27, v14, v4 
             
	;;#ASMEND
	;;#ASMSTART
	
             v_fmac_f32 v24, v14, v5 
             
	;;#ASMEND
	;;#ASMSTART
	
             v_fmac_f32 v25, v14, v6 
             
	;;#ASMEND
	;;#ASMSTART
	
             v_fmac_f32 v21, v14, v7 
             
	;;#ASMEND
	;;#ASMSTART
	
             v_fmac_f32 v19, v15, v4 
             
	;;#ASMEND
	;;#ASMSTART
	
             v_fmac_f32 v20, v15, v5 
             
	;;#ASMEND
	;;#ASMSTART
	
             v_fmac_f32 v17, v15, v6 
             
	;;#ASMEND
	;;#ASMSTART
	
             v_fmac_f32 v18, v15, v7 
             
	;;#ASMEND
	ds_load_b128 v[4:7], v83 offset:31744
	;;#ASMSTART
	
             v_fmac_f32 v67, v12, v8 
             
	;;#ASMEND
	;;#ASMSTART
	
             v_fmac_f32 v69, v12, v9 
             
	;;#ASMEND
	;; [unrolled: 5-line block ×16, first 2 shown]
	ds_load_b128 v[8:11], v83 offset:32000
	ds_load_b128 v[12:15], v82 offset:15616
	s_waitcnt lgkmcnt(2)
	;;#ASMSTART
	
             v_fmac_f32 v72, v0, v4 
             
	;;#ASMEND
	;;#ASMSTART
	
             v_fmac_f32 v68, v0, v5 
             
	;;#ASMEND
	;; [unrolled: 5-line block ×16, first 2 shown]
	s_waitcnt lgkmcnt(1)
	;;#ASMSTART
	
             v_fmac_f32 v79, v0, v8 
             
	;;#ASMEND
	;;#ASMSTART
	
             v_fmac_f32 v78, v0, v9 
             
	;;#ASMEND
	;; [unrolled: 5-line block ×16, first 2 shown]
	ds_load_b128 v[0:3], v82 offset:15872
	s_waitcnt lgkmcnt(1)
	;;#ASMSTART
	
             v_fmac_f32 v49, v12, v4 
             
	;;#ASMEND
	;;#ASMSTART
	
             v_fmac_f32 v51, v12, v5 
             
	;;#ASMEND
	;; [unrolled: 5-line block ×16, first 2 shown]
	ds_load_b128 v[4:7], v83 offset:32256
	;;#ASMSTART
	
             v_fmac_f32 v67, v12, v8 
             
	;;#ASMEND
	;;#ASMSTART
	
             v_fmac_f32 v69, v12, v9 
             
	;;#ASMEND
	;; [unrolled: 5-line block ×16, first 2 shown]
	ds_load_b128 v[8:11], v83 offset:32512
	ds_load_b128 v[12:15], v82 offset:16128
	s_waitcnt lgkmcnt(2)
	;;#ASMSTART
	
             v_fmac_f32 v72, v0, v4 
             
	;;#ASMEND
	;;#ASMSTART
	
             v_fmac_f32 v68, v0, v5 
             
	;;#ASMEND
	;; [unrolled: 5-line block ×16, first 2 shown]
	s_waitcnt lgkmcnt(1)
	;;#ASMSTART
	
             v_fmac_f32 v79, v0, v8 
             
	;;#ASMEND
	;;#ASMSTART
	
             v_fmac_f32 v78, v0, v9 
             
	;;#ASMEND
	;; [unrolled: 5-line block ×4, first 2 shown]
	v_add_nc_u32_e32 v0, s34, v81
	;;#ASMSTART
	
             v_fmac_f32 v74, v1, v8 
             
	;;#ASMEND
	;;#ASMSTART
	
             v_fmac_f32 v75, v1, v9 
             
	;;#ASMEND
	;; [unrolled: 5-line block ×8, first 2 shown]
	v_mul_lo_u32 v2, v0, s18
	v_add_nc_u32_e32 v1, s15, v80
	s_lshl_b32 s26, s35, 2
	s_mov_b32 s27, s23
	;;#ASMSTART
	
             v_fmac_f32 v50, v3, v8 
             
	;;#ASMEND
	;;#ASMSTART
	
             v_fmac_f32 v45, v3, v9 
             
	;;#ASMEND
	;; [unrolled: 5-line block ×4, first 2 shown]
	v_mad_u64_u32 v[80:81], null, v1, s19, v[2:3]
	s_waitcnt lgkmcnt(0)
	;;#ASMSTART
	
             v_fmac_f32 v49, v12, v4 
             
	;;#ASMEND
	;;#ASMSTART
	
             v_fmac_f32 v51, v12, v5 
             
	;;#ASMEND
	;; [unrolled: 5-line block ×6, first 2 shown]
	v_lshlrev_b32_e32 v2, 2, v80
	;;#ASMSTART
	
             v_fmac_f32 v35, v13, v6 
             
	;;#ASMEND
	;;#ASMSTART
	
             v_fmac_f32 v32, v13, v7 
             
	;;#ASMEND
	;; [unrolled: 5-line block ×26, first 2 shown]
	buffer_load_b128 v[2:5], v2, s[24:27], 0 offen
	v_add_nc_u32_e32 v14, s18, v80
	s_lshl_b32 s2, s19, 6
	v_cmp_gt_i32_e32 vcc_lo, s33, v1
	v_add_lshl_u32 v6, v80, s2, 2
	s_mov_b32 s19, s23
	v_lshlrev_b32_e32 v10, 2, v14
	v_add_lshl_u32 v15, v14, s2, 2
	v_add_nc_u32_e32 v14, s18, v14
	s_clause 0x2
	buffer_load_b128 v[6:9], v6, s[24:27], 0 offen
	buffer_load_b128 v[10:13], v10, s[24:27], 0 offen
	;; [unrolled: 1-line block ×3, first 2 shown]
	v_lshlrev_b32_e32 v15, 2, v14
	buffer_load_b128 v[84:87], v15, s[24:27], 0 offen
	v_add_lshl_u32 v15, v14, s2, 2
	v_add_nc_u32_e32 v14, s18, v14
	buffer_load_b128 v[88:91], v15, s[24:27], 0 offen
	v_lshlrev_b32_e32 v15, 2, v14
	buffer_load_b128 v[92:95], v15, s[24:27], 0 offen
	v_add_lshl_u32 v15, v14, s2, 2
	s_delay_alu instid0(VALU_DEP_1)
	v_mad_u64_u32 v[108:109], null, s18, 61, v[14:15]
	buffer_load_b128 v[96:99], v15, s[24:27], 0 offen
	v_lshlrev_b32_e32 v14, 2, v108
	buffer_load_b128 v[100:103], v14, s[24:27], 0 offen
	v_add_lshl_u32 v14, v108, s2, 2
	buffer_load_b128 v[104:107], v14, s[24:27], 0 offen
	v_add_nc_u32_e32 v14, s18, v108
	s_delay_alu instid0(VALU_DEP_1)
	v_lshlrev_b32_e32 v15, 2, v14
	buffer_load_b128 v[108:111], v15, s[24:27], 0 offen
	v_add_lshl_u32 v15, v14, s2, 2
	v_add_nc_u32_e32 v14, s18, v14
	buffer_load_b128 v[112:115], v15, s[24:27], 0 offen
	v_lshlrev_b32_e32 v15, 2, v14
	buffer_load_b128 v[116:119], v15, s[24:27], 0 offen
	v_add_lshl_u32 v15, v14, s2, 2
	v_add_nc_u32_e32 v14, s18, v14
	buffer_load_b128 v[120:123], v15, s[24:27], 0 offen
	v_lshlrev_b32_e32 v15, 2, v14
	v_add_lshl_u32 v14, v14, s2, 2
	v_cmp_gt_i32_e64 s2, s14, v0
	s_clause 0x1
	buffer_load_b128 v[124:127], v15, s[24:27], 0 offen
	buffer_load_b128 v[128:131], v14, s[24:27], 0 offen
	s_and_b32 s3, s2, vcc_lo
	v_add_nc_u32_e32 v15, 64, v1
	s_clause 0x3
	s_load_b64 s[4:5], s[0:1], 0x1e8
	s_load_b32 s6, s[0:1], 0x1f4
	s_load_b32 s8, s[0:1], 0x200
	;; [unrolled: 1-line block ×3, first 2 shown]
	s_waitcnt lgkmcnt(0)
	s_lshl_b32 s18, s7, 2
	s_waitcnt vmcnt(15)
	v_cndmask_b32_e64 v3, 0, v3, s3
	v_cndmask_b32_e64 v5, 0, v5, s3
	v_cndmask_b32_e64 v2, 0, v2, s3
	v_cndmask_b32_e64 v4, 0, v4, s3
	v_cmp_gt_i32_e64 s3, s33, v15
	v_add_f32_e32 v3, v68, v3
	v_or_b32_e32 v68, 1, v0
	v_add_f32_e32 v5, v66, v5
	v_add_f32_e32 v4, v70, v4
	s_and_b32 s0, s2, s3
	v_add_f32_e32 v2, v72, v2
	v_cmp_gt_i32_e64 s1, s14, v68
	s_waitcnt vmcnt(14)
	v_cndmask_b32_e64 v9, 0, v9, s0
	v_cndmask_b32_e64 v6, 0, v6, s0
	;; [unrolled: 1-line block ×4, first 2 shown]
	s_and_b32 s0, s1, vcc_lo
	v_add_f32_e32 v9, v77, v9
	s_waitcnt vmcnt(13)
	v_cndmask_b32_e64 v11, 0, v11, s0
	v_cndmask_b32_e64 v10, 0, v10, s0
	;; [unrolled: 1-line block ×3, first 2 shown]
	v_add_f32_e32 v7, v78, v7
	v_cndmask_b32_e64 v13, 0, v13, s0
	v_add_f32_e32 v11, v61, v11
	s_and_b32 s0, s1, s3
	v_or_b32_e32 v78, 2, v0
	v_add_f32_e32 v10, v57, v10
	v_add_f32_e32 v12, v58, v12
	s_waitcnt vmcnt(12)
	v_cndmask_b32_e64 v57, 0, v80, s0
	v_cndmask_b32_e64 v58, 0, v81, s0
	v_cmp_gt_i32_e64 s1, s14, v78
	v_add_f32_e32 v13, v56, v13
	v_cndmask_b32_e64 v14, 0, v83, s0
	s_delay_alu instid0(VALU_DEP_4) | instskip(SKIP_2) | instid1(VALU_DEP_3)
	v_dual_add_f32 v56, v74, v57 :: v_dual_add_f32 v57, v75, v58
	v_cndmask_b32_e64 v58, 0, v82, s0
	s_and_b32 s0, s1, vcc_lo
	v_add_f32_e32 v14, v73, v14
	s_delay_alu instid0(VALU_DEP_3)
	v_dual_max_f32 v74, 0, v56 :: v_dual_max_f32 v75, 0, v57
	s_waitcnt vmcnt(11)
	v_cndmask_b32_e64 v57, 0, v84, s0
	v_cndmask_b32_e64 v56, 0, v87, s0
	;; [unrolled: 1-line block ×3, first 2 shown]
	v_add_f32_e32 v6, v79, v6
	v_cndmask_b32_e64 v66, 0, v86, s0
	v_add_f32_e32 v44, v44, v57
	v_or_b32_e32 v79, 3, v0
	s_and_b32 s0, s1, s3
	v_add_f32_e32 v46, v46, v61
	v_add_f32_e32 v58, v71, v58
	v_max_f32_e32 v70, 0, v44
	s_waitcnt vmcnt(10)
	v_cndmask_b32_e64 v44, 0, v88, s0
	v_dual_max_f32 v77, 0, v14 :: v_dual_add_f32 v14, v43, v56
	v_cmp_gt_i32_e64 s1, s14, v79
	v_cndmask_b32_e64 v43, 0, v91, s0
	s_delay_alu instid0(VALU_DEP_4)
	v_dual_add_f32 v44, v62, v44 :: v_dual_max_f32 v71, 0, v46
	v_cndmask_b32_e64 v46, 0, v89, s0
	v_max_f32_e32 v73, 0, v14
	v_cndmask_b32_e64 v14, 0, v90, s0
	s_and_b32 s0, s1, vcc_lo
	v_add_f32_e32 v8, v76, v8
	v_max_f32_e32 v76, 0, v58
	v_add_f32_e32 v46, v63, v46
	s_waitcnt vmcnt(9)
	v_cndmask_b32_e64 v58, 0, v92, s0
	v_max_f32_e32 v56, 0, v44
	v_dual_add_f32 v14, v59, v14 :: v_dual_add_f32 v43, v60, v43
	v_add_f32_e32 v48, v48, v66
	v_cndmask_b32_e64 v44, 0, v93, s0
	v_max_f32_e32 v57, 0, v46
	v_dual_add_f32 v31, v31, v58 :: v_dual_add_nc_u32 v80, 64, v0
	v_cndmask_b32_e64 v46, 0, v94, s0
	v_dual_max_f32 v58, 0, v14 :: v_dual_max_f32 v59, 0, v43
	v_max_f32_e32 v72, 0, v48
	v_cndmask_b32_e64 v48, 0, v95, s0
	v_add_f32_e32 v14, v29, v44
	s_and_b32 s0, s1, s3
	v_dual_max_f32 v60, 0, v31 :: v_dual_add_f32 v29, v30, v46
	s_waitcnt vmcnt(8)
	v_cndmask_b32_e64 v31, 0, v96, s0
	v_dual_max_f32 v61, 0, v14 :: v_dual_add_f32 v14, v28, v48
	v_cmp_gt_i32_e64 s1, s14, v80
	v_max_f32_e32 v62, 0, v29
	v_cndmask_b32_e64 v30, 0, v99, s0
	s_delay_alu instid0(VALU_DEP_4)
	v_dual_add_f32 v28, v50, v31 :: v_dual_max_f32 v63, 0, v14
	v_cndmask_b32_e64 v29, 0, v97, s0
	v_cndmask_b32_e64 v14, 0, v98, s0
	s_and_b32 s0, s1, vcc_lo
	v_add_nc_u32_e32 v81, 0x41, v0
	s_waitcnt vmcnt(7)
	v_cndmask_b32_e64 v44, 0, v101, s0
	v_cndmask_b32_e64 v31, 0, v100, s0
	v_add_f32_e32 v29, v45, v29
	v_cndmask_b32_e64 v43, 0, v103, s0
	v_cndmask_b32_e64 v45, 0, v102, s0
	v_add_f32_e32 v44, v51, v44
	v_add_f32_e32 v14, v40, v14
	v_add_f32_e32 v40, v41, v30
	v_add_f32_e32 v41, v49, v31
	s_and_b32 s0, s1, s3
	v_cmp_gt_i32_e64 s1, s14, v81
	v_dual_max_f32 v28, 0, v28 :: v_dual_add_f32 v43, v42, v43
	s_delay_alu instid0(VALU_DEP_3) | instskip(SKIP_1) | instid1(VALU_DEP_3)
	v_dual_max_f32 v31, 0, v40 :: v_dual_max_f32 v40, 0, v41
	v_dual_max_f32 v41, 0, v44 :: v_dual_max_f32 v30, 0, v14
	v_max_f32_e32 v43, 0, v43
	s_waitcnt vmcnt(6)
	v_cndmask_b32_e64 v46, 0, v107, s0
	v_add_f32_e32 v14, v47, v45
	v_cndmask_b32_e64 v44, 0, v104, s0
	v_cndmask_b32_e64 v45, 0, v105, s0
	;; [unrolled: 1-line block ×3, first 2 shown]
	v_add_f32_e32 v51, v65, v46
	s_and_b32 s0, s1, vcc_lo
	s_delay_alu instid0(VALU_DEP_3)
	v_dual_add_f32 v45, v69, v45 :: v_dual_add_nc_u32 v82, 0x43, v0
	v_max_f32_e32 v42, 0, v14
	v_add_f32_e32 v14, v67, v44
	s_waitcnt vmcnt(5)
	v_cndmask_b32_e64 v48, 0, v108, s0
	v_cndmask_b32_e64 v49, 0, v109, s0
	;; [unrolled: 1-line block ×3, first 2 shown]
	v_add_f32_e32 v47, v64, v47
	v_add_nc_u32_e32 v69, 0x42, v0
	s_delay_alu instid0(VALU_DEP_4) | instskip(NEXT) | instid1(VALU_DEP_3)
	v_dual_add_f32 v33, v33, v48 :: v_dual_add_f32 v34, v34, v49
	v_dual_add_f32 v35, v35, v50 :: v_dual_max_f32 v46, 0, v47
	v_dual_max_f32 v47, 0, v51 :: v_dual_max_f32 v44, 0, v14
	v_cndmask_b32_e64 v14, 0, v111, s0
	s_delay_alu instid0(VALU_DEP_4)
	v_max_f32_e32 v48, 0, v33
	s_and_b32 s0, s1, s3
	v_cmp_gt_i32_e64 s1, s14, v69
	s_waitcnt vmcnt(4)
	v_cndmask_b32_e64 v33, 0, v113, s0
	v_add_f32_e32 v14, v32, v14
	v_cndmask_b32_e64 v32, 0, v112, s0
	v_max_f32_e32 v49, 0, v34
	v_cndmask_b32_e64 v34, 0, v115, s0
	v_dual_add_f32 v33, v55, v33 :: v_dual_max_f32 v50, 0, v35
	v_max_f32_e32 v51, 0, v14
	v_cndmask_b32_e64 v14, 0, v114, s0
	s_and_b32 s0, s1, vcc_lo
	s_delay_alu instid0(VALU_DEP_3)
	v_dual_add_f32 v32, v54, v32 :: v_dual_max_f32 v33, 0, v33
	s_waitcnt vmcnt(3)
	v_cndmask_b32_e64 v35, 0, v116, s0
	v_cndmask_b32_e64 v54, 0, v119, s0
	v_add_f32_e32 v14, v52, v14
	v_max_f32_e32 v32, 0, v32
	s_delay_alu instid0(VALU_DEP_4)
	v_dual_add_f32 v52, v53, v34 :: v_dual_add_f32 v27, v27, v35
	v_cndmask_b32_e64 v53, 0, v117, s0
	v_cndmask_b32_e64 v55, 0, v118, s0
	s_and_b32 s0, s1, s3
	v_cmp_gt_i32_e64 s1, s14, v82
	v_dual_max_f32 v35, 0, v52 :: v_dual_max_f32 v34, 0, v14
	v_cmp_gt_i32_e64 s2, s6, v68
	v_max_f32_e32 v2, 0, v2
	s_delay_alu instid0(VALU_DEP_4)
	s_and_b32 vcc_lo, s1, vcc_lo
	v_add_f32_e32 v14, v24, v53
	v_max_f32_e32 v52, 0, v27
	s_waitcnt vmcnt(2)
	v_cndmask_b32_e64 v27, 0, v120, s0
	v_dual_max_f32 v3, 0, v3 :: v_dual_max_f32 v4, 0, v4
	v_max_f32_e32 v53, 0, v14
	s_delay_alu instid0(VALU_DEP_3) | instskip(SKIP_3) | instid1(VALU_DEP_3)
	v_dual_add_f32 v14, v21, v54 :: v_dual_add_f32 v21, v39, v27
	s_waitcnt vmcnt(1)
	v_cndmask_b32_e32 v27, 0, v124, vcc_lo
	v_dual_max_f32 v5, 0, v5 :: v_dual_max_f32 v6, 0, v6
	v_dual_max_f32 v7, 0, v7 :: v_dual_max_f32 v64, 0, v21
	s_delay_alu instid0(VALU_DEP_3) | instskip(SKIP_4) | instid1(VALU_DEP_4)
	v_add_f32_e32 v19, v19, v27
	v_dual_add_f32 v24, v25, v55 :: v_dual_max_f32 v55, 0, v14
	v_cndmask_b32_e64 v25, 0, v123, s0
	v_cndmask_b32_e64 v14, 0, v122, s0
	v_max_f32_e32 v8, 0, v8
	v_max_f32_e32 v54, 0, v24
	v_cndmask_b32_e64 v24, 0, v121, s0
	v_cmp_gt_i32_e64 s0, s6, v0
	v_dual_max_f32 v9, 0, v9 :: v_dual_max_f32 v10, 0, v10
	v_max_f32_e32 v11, 0, v11
	s_delay_alu instid0(VALU_DEP_4) | instskip(SKIP_2) | instid1(VALU_DEP_3)
	v_dual_add_f32 v21, v38, v24 :: v_dual_cndmask_b32 v38, 0, v125
	v_dual_max_f32 v12, 0, v12 :: v_dual_max_f32 v13, 0, v13
	v_max_f32_e32 v29, 0, v29
	v_max_f32_e32 v65, 0, v21
	v_add_f32_e32 v21, v37, v25
	v_cndmask_b32_e32 v25, 0, v126, vcc_lo
	v_add_f32_e32 v14, v36, v14
	v_cndmask_b32_e32 v24, 0, v127, vcc_lo
	s_and_b32 vcc_lo, s1, s3
	v_max_f32_e32 v67, 0, v21
	s_delay_alu instid0(VALU_DEP_3)
	v_dual_add_f32 v17, v17, v25 :: v_dual_max_f32 v66, 0, v14
	s_waitcnt vmcnt(0)
	v_cndmask_b32_e32 v21, 0, v128, vcc_lo
	v_mul_lo_u32 v14, v0, s4
	v_add_f32_e32 v20, v20, v38
	v_max_f32_e32 v38, 0, v17
	v_cmp_gt_i32_e64 s1, s8, v15
	v_add_f32_e32 v17, v22, v21
	v_add_f32_e32 v18, v18, v24
	v_cndmask_b32_e32 v24, 0, v130, vcc_lo
	s_lshl_b32 s3, s5, 6
	v_mad_u64_u32 v[21:22], null, v1, s5, v[14:15]
	v_dual_max_f32 v17, 0, v17 :: v_dual_max_f32 v36, 0, v19
	v_max_f32_e32 v39, 0, v18
	v_cndmask_b32_e32 v19, 0, v129, vcc_lo
	v_dual_max_f32 v37, 0, v20 :: v_dual_cndmask_b32 v20, 0, v131
	v_cmp_gt_i32_e32 vcc_lo, s8, v1
	v_add_nc_u32_e32 v0, s3, v21
	s_delay_alu instid0(VALU_DEP_4)
	v_dual_add_f32 v18, v23, v19 :: v_dual_add_f32 v19, v26, v24
	v_max_f32_e32 v45, 0, v45
	s_and_b32 s8, s0, vcc_lo
	s_and_b32 s0, s0, s1
	v_cndmask_b32_e64 v1, 0x80000000, 0, s8
	v_cndmask_b32_e64 v14, 0x80000000, 0, s0
	s_and_b32 s0, s2, s1
	v_add_nc_u32_e32 v15, s4, v0
	v_cndmask_b32_e64 v22, 0x80000000, 0, s0
	v_lshl_add_u32 v1, v21, 2, v1
	v_lshl_add_u32 v0, v0, 2, v14
	v_cmp_gt_i32_e64 s0, s6, v78
	s_and_b32 s2, s2, vcc_lo
	v_lshl_add_u32 v14, v15, 2, v22
	s_clause 0x2
	buffer_store_b128 v[2:5], v1, s[16:19], 0 offen
	buffer_store_b128 v[6:9], v0, s[16:19], 0 offen
	;; [unrolled: 1-line block ×3, first 2 shown]
	v_add_nc_u32_e32 v2, s4, v15
	v_add_nc_u32_e32 v0, s4, v21
	v_cndmask_b32_e64 v1, 0x80000000, 0, s2
	v_cmp_gt_i32_e64 s2, s6, v79
	s_and_b32 s7, s0, vcc_lo
	s_and_b32 s0, s0, s1
	v_dual_add_f32 v16, v16, v20 :: v_dual_add_nc_u32 v5, s4, v2
	v_dual_max_f32 v18, 0, v18 :: v_dual_add_nc_u32 v3, s4, v0
	v_cndmask_b32_e64 v4, 0x80000000, 0, s7
	v_cndmask_b32_e64 v6, 0x80000000, 0, s0
	s_and_b32 s0, s2, s1
	v_subrev_nc_u32_e32 v8, s3, v5
	v_cndmask_b32_e64 v7, 0x80000000, 0, s0
	v_lshl_add_u32 v0, v0, 2, v1
	v_lshl_add_u32 v1, v3, 2, v4
	s_and_b32 s0, s2, vcc_lo
	v_lshl_add_u32 v2, v2, 2, v6
	v_lshl_add_u32 v3, v5, 2, v7
	v_cndmask_b32_e64 v5, 0x80000000, 0, s0
	v_cmp_gt_i32_e64 s0, s6, v82
	s_add_i32 s2, s5, s4
	v_lshlrev_b32_e32 v4, 2, v8
	s_clause 0x3
	buffer_store_b128 v[10:13], v0, s[16:19], 0 offen
	buffer_store_b128 v[70:73], v1, s[16:19], 0 offen
	;; [unrolled: 1-line block ×4, first 2 shown]
	v_lshl_add_u32 v1, s2, 6, v8
	v_cmp_ge_i32_e64 s2, s6, v82
	s_and_b32 s8, s0, vcc_lo
	s_and_b32 s0, s0, s1
	v_add_nc_u32_e32 v0, v4, v5
	v_cndmask_b32_e64 v2, 0x80000000, 0, s8
	v_cndmask_b32_e64 v3, 0x80000000, 0, s0
	v_subrev_nc_u32_e32 v5, s4, v1
	s_and_b32 s0, s2, s1
	s_lshl_b32 s7, s4, 8
	v_cndmask_b32_e64 v6, 0x80000000, 0, s0
	v_cmp_gt_i32_e64 s0, s6, v69
	v_dual_max_f32 v19, 0, v19 :: v_dual_max_f32 v20, 0, v16
	v_add3_u32 v2, v2, s7, v4
	buffer_store_b128 v[60:63], v0, s[16:19], 0 offen
	v_lshl_add_u32 v0, v1, 2, v3
	v_subrev_nc_u32_e32 v1, s3, v5
	v_cmp_ge_i32_e64 s2, s6, v69
	s_and_b32 s0, s0, vcc_lo
	v_lshl_add_u32 v3, v5, 2, v6
	s_clause 0x1
	buffer_store_b128 v[36:39], v2, s[16:19], 0 offen
	buffer_store_b128 v[17:20], v0, s[16:19], 0 offen
	v_subrev_nc_u32_e32 v0, s4, v1
	v_cndmask_b32_e64 v2, 0x80000000, 0, s0
	v_cmp_gt_i32_e64 s0, s6, v81
	s_and_b32 s2, s2, vcc_lo
	buffer_store_b128 v[64:67], v3, s[16:19], 0 offen
	v_cndmask_b32_e64 v4, 0x80000000, 0, s2
	v_cmp_gt_i32_e64 s2, s6, v80
	v_add_nc_u32_e32 v3, s3, v0
	s_and_b32 s0, s0, s1
	v_lshl_add_u32 v1, v1, 2, v2
	v_cndmask_b32_e64 v6, 0x80000000, 0, s0
	v_cmp_ge_i32_e64 s0, s6, v81
	s_and_b32 s2, s2, vcc_lo
	v_subrev_nc_u32_e32 v5, s4, v3
	v_cndmask_b32_e64 v7, 0x80000000, 0, s2
	s_lshl_b32 s2, s5, 8
	s_and_b32 s0, s0, s1
	v_lshl_add_u32 v0, v0, 2, v4
	v_lshlrev_b32_e32 v5, 2, v5
	v_cndmask_b32_e64 v8, 0x80000000, 0, s0
	v_subrev_nc_u32_e32 v7, s2, v7
	v_lshl_add_u32 v2, v3, 2, v6
	s_delay_alu instid0(VALU_DEP_3) | instskip(NEXT) | instid1(VALU_DEP_3)
	v_add_nc_u32_e32 v3, v5, v8
	v_add_nc_u32_e32 v4, v7, v5
	s_clause 0x4
	buffer_store_b128 v[52:55], v1, s[16:19], 0 offen
	buffer_store_b128 v[48:51], v0, s[16:19], 0 offen
	;; [unrolled: 1-line block ×5, first 2 shown]
	s_nop 0
	s_sendmsg sendmsg(MSG_DEALLOC_VGPRS)
	s_endpgm
	.section	.rodata,"a",@progbits
	.p2align	6, 0x0
	.amdhsa_kernel _ZN2ck16tensor_operation6device12_GLOBAL__N_137kernel_grouped_conv_fwd_dl_multiple_dINS_32GridwiseGemmDlMultipleD_km_kn_mnILi256EffNS_5TupleIJfEEEfNS0_12element_wise11PassThroughES8_NS7_7AddReluELNS_25InMemoryDataOperationEnumE0ENS_16TensorDescriptorINS5_IJNS_5EmbedINS5_IJiiiiEEESD_Lb0EEENS_11PassThroughIiEENS_3PadIiiiLb0EEESI_SG_SG_NSC_INS5_IJiiEEESJ_Lb0EEESK_SG_NS_23Merge_v2_magic_divisionINS5_IJiiiEEEEESN_NS_8RightPadIiiLb0EEESP_NS_7UnMergeISJ_Lb0EEESG_EEENS5_IJNS_8SequenceIJLi0EEEENST_IJLi1EEEENST_IJLi2EEEENST_IJLi3EEEENST_IJLi4EEEENST_IJLi5EEEENST_IJLi6EEEENST_IJLi7EEEENST_IJLi8EEEENST_IJLi9ELi11ELi13EEEENST_IJLi10ELi12ELi14EEEENST_IJLi15EEEENST_IJLi16EEEENST_IJLi18EEEENST_IJLi17EEEEEEENS5_IJNST_IJLi1ELi2ELi3ELi4EEEESZ_S10_S11_S12_NST_IJLi9EEEENST_IJLi10ELi11EEEENST_IJLi12ELi13EEEENST_IJLi14EEEES15_S16_S18_S17_NST_IJLi19ELi20EEEENST_IJLi21EEEEEEENST_IJLi19ELi21ELi20EEEElEENSB_INS5_IJSR_SP_SP_SR_SG_EEENS5_IJSU_SV_SW_SY_SX_EEENS5_IJNST_IJLi1ELi2EEEESX_SY_NST_IJLi5ELi6EEEES11_EEENST_IJLi5ELi7ELi6EEEElEENSB_INS5_IJSK_SP_SP_EEENS5_IJSU_SV_SW_EEENS5_IJS1M_SX_SY_EEENST_IJLi3ELi4EEEElEELi128ELi128ELi16ELi1ELi4ELi4ELi1ENST_IJLi8ELi2EEEES1W_NST_IJLi8ELi1ELi1ELi1EEEENST_IJLi2ELi1ELi128ELi1EEEENST_IJLi1ELi2ELi0ELi3EEEES1Z_NST_IJLi4ELi1ELi1ELi1EEEES1Z_NST_IJLi1ELi1ELi1ELi1EEEES1X_S1Y_S1Z_S1Z_S20_S1Z_S21_NST_IJLi0ELi1ELi2ELi3ELi4ELi5EEEELi5ELi4EEEfNS5_IJPKfEEEfS8_S8_S9_NSB_INS5_IJSE_SG_SI_SI_SG_SG_SK_SK_SG_SN_SN_SP_SP_SR_SG_SG_NSQ_INS5_IJiNS_17integral_constantIiLi128EEEEEELb0EEENSF_INS27_IiLi1EEEEEEEENS5_IJSU_SV_SW_SX_SY_SZ_S10_S11_S12_S13_S14_S15_S16_S17_S18_NST_IJLi19EEEES1G_NST_IJLi20EEEEEEENS5_IJS1A_SZ_S10_S11_S12_S1B_S1C_S1D_S1E_S15_S16_S18_S17_S1F_S1G_NST_IJLi22EEEENST_IJLi23ELi24EEEENST_IJLi25EEEEEEENST_IJLi22ELi23ELi24ELi25EEEElEENSB_INS5_IJSR_SP_SP_SR_SG_SG_S2A_S2C_EEENS5_IJSU_SV_SW_SY_SX_SZ_S11_S10_EEENS5_IJS1M_SX_SY_S1N_S11_S12_NST_IJLi9ELi10EEEENST_IJLi11EEEEEEENST_IJLi8ELi9ELi10ELi11EEEElEENS5_IJNSB_INS5_IJSK_SP_SP_NSQ_INS5_IJiNS27_IiLi2EEENS27_IiLi64EEEEEELb0EEES2X_EEENS5_IJSU_SV_SW_SX_SY_EEENS5_IJS1M_SX_SY_NST_IJLi5ELi6ELi7EEEENST_IJLi8ELi9ELi10EEEEEEENST_IJLi5ELi6ELi7ELi8ELi9ELi10EEEElEEEEES34_NS_31BlockToCTileMap_M00_N00_M01_N01ILi128ELi128ES1V_Lb0EEENS1_30ComputePtrOffsetOfStridedBatchILi1ELi1ELi1EvEELb0ELb1EEEvPKT0_S3C_T1_PT2_T3_T4_T5_iT6_T7_T8_T9_T10_T11_
		.amdhsa_group_segment_fixed_size 32768
		.amdhsa_private_segment_fixed_size 0
		.amdhsa_kernarg_size 968
		.amdhsa_user_sgpr_count 15
		.amdhsa_user_sgpr_dispatch_ptr 0
		.amdhsa_user_sgpr_queue_ptr 0
		.amdhsa_user_sgpr_kernarg_segment_ptr 1
		.amdhsa_user_sgpr_dispatch_id 0
		.amdhsa_user_sgpr_private_segment_size 0
		.amdhsa_wavefront_size32 1
		.amdhsa_uses_dynamic_stack 0
		.amdhsa_enable_private_segment 0
		.amdhsa_system_sgpr_workgroup_id_x 1
		.amdhsa_system_sgpr_workgroup_id_y 0
		.amdhsa_system_sgpr_workgroup_id_z 0
		.amdhsa_system_sgpr_workgroup_info 0
		.amdhsa_system_vgpr_workitem_id 0
		.amdhsa_next_free_vgpr 132
		.amdhsa_next_free_sgpr 58
		.amdhsa_reserve_vcc 1
		.amdhsa_float_round_mode_32 0
		.amdhsa_float_round_mode_16_64 0
		.amdhsa_float_denorm_mode_32 3
		.amdhsa_float_denorm_mode_16_64 3
		.amdhsa_dx10_clamp 1
		.amdhsa_ieee_mode 1
		.amdhsa_fp16_overflow 0
		.amdhsa_workgroup_processor_mode 1
		.amdhsa_memory_ordered 1
		.amdhsa_forward_progress 0
		.amdhsa_shared_vgpr_count 0
		.amdhsa_exception_fp_ieee_invalid_op 0
		.amdhsa_exception_fp_denorm_src 0
		.amdhsa_exception_fp_ieee_div_zero 0
		.amdhsa_exception_fp_ieee_overflow 0
		.amdhsa_exception_fp_ieee_underflow 0
		.amdhsa_exception_fp_ieee_inexact 0
		.amdhsa_exception_int_div_zero 0
	.end_amdhsa_kernel
	.section	.text._ZN2ck16tensor_operation6device12_GLOBAL__N_137kernel_grouped_conv_fwd_dl_multiple_dINS_32GridwiseGemmDlMultipleD_km_kn_mnILi256EffNS_5TupleIJfEEEfNS0_12element_wise11PassThroughES8_NS7_7AddReluELNS_25InMemoryDataOperationEnumE0ENS_16TensorDescriptorINS5_IJNS_5EmbedINS5_IJiiiiEEESD_Lb0EEENS_11PassThroughIiEENS_3PadIiiiLb0EEESI_SG_SG_NSC_INS5_IJiiEEESJ_Lb0EEESK_SG_NS_23Merge_v2_magic_divisionINS5_IJiiiEEEEESN_NS_8RightPadIiiLb0EEESP_NS_7UnMergeISJ_Lb0EEESG_EEENS5_IJNS_8SequenceIJLi0EEEENST_IJLi1EEEENST_IJLi2EEEENST_IJLi3EEEENST_IJLi4EEEENST_IJLi5EEEENST_IJLi6EEEENST_IJLi7EEEENST_IJLi8EEEENST_IJLi9ELi11ELi13EEEENST_IJLi10ELi12ELi14EEEENST_IJLi15EEEENST_IJLi16EEEENST_IJLi18EEEENST_IJLi17EEEEEEENS5_IJNST_IJLi1ELi2ELi3ELi4EEEESZ_S10_S11_S12_NST_IJLi9EEEENST_IJLi10ELi11EEEENST_IJLi12ELi13EEEENST_IJLi14EEEES15_S16_S18_S17_NST_IJLi19ELi20EEEENST_IJLi21EEEEEEENST_IJLi19ELi21ELi20EEEElEENSB_INS5_IJSR_SP_SP_SR_SG_EEENS5_IJSU_SV_SW_SY_SX_EEENS5_IJNST_IJLi1ELi2EEEESX_SY_NST_IJLi5ELi6EEEES11_EEENST_IJLi5ELi7ELi6EEEElEENSB_INS5_IJSK_SP_SP_EEENS5_IJSU_SV_SW_EEENS5_IJS1M_SX_SY_EEENST_IJLi3ELi4EEEElEELi128ELi128ELi16ELi1ELi4ELi4ELi1ENST_IJLi8ELi2EEEES1W_NST_IJLi8ELi1ELi1ELi1EEEENST_IJLi2ELi1ELi128ELi1EEEENST_IJLi1ELi2ELi0ELi3EEEES1Z_NST_IJLi4ELi1ELi1ELi1EEEES1Z_NST_IJLi1ELi1ELi1ELi1EEEES1X_S1Y_S1Z_S1Z_S20_S1Z_S21_NST_IJLi0ELi1ELi2ELi3ELi4ELi5EEEELi5ELi4EEEfNS5_IJPKfEEEfS8_S8_S9_NSB_INS5_IJSE_SG_SI_SI_SG_SG_SK_SK_SG_SN_SN_SP_SP_SR_SG_SG_NSQ_INS5_IJiNS_17integral_constantIiLi128EEEEEELb0EEENSF_INS27_IiLi1EEEEEEEENS5_IJSU_SV_SW_SX_SY_SZ_S10_S11_S12_S13_S14_S15_S16_S17_S18_NST_IJLi19EEEES1G_NST_IJLi20EEEEEEENS5_IJS1A_SZ_S10_S11_S12_S1B_S1C_S1D_S1E_S15_S16_S18_S17_S1F_S1G_NST_IJLi22EEEENST_IJLi23ELi24EEEENST_IJLi25EEEEEEENST_IJLi22ELi23ELi24ELi25EEEElEENSB_INS5_IJSR_SP_SP_SR_SG_SG_S2A_S2C_EEENS5_IJSU_SV_SW_SY_SX_SZ_S11_S10_EEENS5_IJS1M_SX_SY_S1N_S11_S12_NST_IJLi9ELi10EEEENST_IJLi11EEEEEEENST_IJLi8ELi9ELi10ELi11EEEElEENS5_IJNSB_INS5_IJSK_SP_SP_NSQ_INS5_IJiNS27_IiLi2EEENS27_IiLi64EEEEEELb0EEES2X_EEENS5_IJSU_SV_SW_SX_SY_EEENS5_IJS1M_SX_SY_NST_IJLi5ELi6ELi7EEEENST_IJLi8ELi9ELi10EEEEEEENST_IJLi5ELi6ELi7ELi8ELi9ELi10EEEElEEEEES34_NS_31BlockToCTileMap_M00_N00_M01_N01ILi128ELi128ES1V_Lb0EEENS1_30ComputePtrOffsetOfStridedBatchILi1ELi1ELi1EvEELb0ELb1EEEvPKT0_S3C_T1_PT2_T3_T4_T5_iT6_T7_T8_T9_T10_T11_,"axG",@progbits,_ZN2ck16tensor_operation6device12_GLOBAL__N_137kernel_grouped_conv_fwd_dl_multiple_dINS_32GridwiseGemmDlMultipleD_km_kn_mnILi256EffNS_5TupleIJfEEEfNS0_12element_wise11PassThroughES8_NS7_7AddReluELNS_25InMemoryDataOperationEnumE0ENS_16TensorDescriptorINS5_IJNS_5EmbedINS5_IJiiiiEEESD_Lb0EEENS_11PassThroughIiEENS_3PadIiiiLb0EEESI_SG_SG_NSC_INS5_IJiiEEESJ_Lb0EEESK_SG_NS_23Merge_v2_magic_divisionINS5_IJiiiEEEEESN_NS_8RightPadIiiLb0EEESP_NS_7UnMergeISJ_Lb0EEESG_EEENS5_IJNS_8SequenceIJLi0EEEENST_IJLi1EEEENST_IJLi2EEEENST_IJLi3EEEENST_IJLi4EEEENST_IJLi5EEEENST_IJLi6EEEENST_IJLi7EEEENST_IJLi8EEEENST_IJLi9ELi11ELi13EEEENST_IJLi10ELi12ELi14EEEENST_IJLi15EEEENST_IJLi16EEEENST_IJLi18EEEENST_IJLi17EEEEEEENS5_IJNST_IJLi1ELi2ELi3ELi4EEEESZ_S10_S11_S12_NST_IJLi9EEEENST_IJLi10ELi11EEEENST_IJLi12ELi13EEEENST_IJLi14EEEES15_S16_S18_S17_NST_IJLi19ELi20EEEENST_IJLi21EEEEEEENST_IJLi19ELi21ELi20EEEElEENSB_INS5_IJSR_SP_SP_SR_SG_EEENS5_IJSU_SV_SW_SY_SX_EEENS5_IJNST_IJLi1ELi2EEEESX_SY_NST_IJLi5ELi6EEEES11_EEENST_IJLi5ELi7ELi6EEEElEENSB_INS5_IJSK_SP_SP_EEENS5_IJSU_SV_SW_EEENS5_IJS1M_SX_SY_EEENST_IJLi3ELi4EEEElEELi128ELi128ELi16ELi1ELi4ELi4ELi1ENST_IJLi8ELi2EEEES1W_NST_IJLi8ELi1ELi1ELi1EEEENST_IJLi2ELi1ELi128ELi1EEEENST_IJLi1ELi2ELi0ELi3EEEES1Z_NST_IJLi4ELi1ELi1ELi1EEEES1Z_NST_IJLi1ELi1ELi1ELi1EEEES1X_S1Y_S1Z_S1Z_S20_S1Z_S21_NST_IJLi0ELi1ELi2ELi3ELi4ELi5EEEELi5ELi4EEEfNS5_IJPKfEEEfS8_S8_S9_NSB_INS5_IJSE_SG_SI_SI_SG_SG_SK_SK_SG_SN_SN_SP_SP_SR_SG_SG_NSQ_INS5_IJiNS_17integral_constantIiLi128EEEEEELb0EEENSF_INS27_IiLi1EEEEEEEENS5_IJSU_SV_SW_SX_SY_SZ_S10_S11_S12_S13_S14_S15_S16_S17_S18_NST_IJLi19EEEES1G_NST_IJLi20EEEEEEENS5_IJS1A_SZ_S10_S11_S12_S1B_S1C_S1D_S1E_S15_S16_S18_S17_S1F_S1G_NST_IJLi22EEEENST_IJLi23ELi24EEEENST_IJLi25EEEEEEENST_IJLi22ELi23ELi24ELi25EEEElEENSB_INS5_IJSR_SP_SP_SR_SG_SG_S2A_S2C_EEENS5_IJSU_SV_SW_SY_SX_SZ_S11_S10_EEENS5_IJS1M_SX_SY_S1N_S11_S12_NST_IJLi9ELi10EEEENST_IJLi11EEEEEEENST_IJLi8ELi9ELi10ELi11EEEElEENS5_IJNSB_INS5_IJSK_SP_SP_NSQ_INS5_IJiNS27_IiLi2EEENS27_IiLi64EEEEEELb0EEES2X_EEENS5_IJSU_SV_SW_SX_SY_EEENS5_IJS1M_SX_SY_NST_IJLi5ELi6ELi7EEEENST_IJLi8ELi9ELi10EEEEEEENST_IJLi5ELi6ELi7ELi8ELi9ELi10EEEElEEEEES34_NS_31BlockToCTileMap_M00_N00_M01_N01ILi128ELi128ES1V_Lb0EEENS1_30ComputePtrOffsetOfStridedBatchILi1ELi1ELi1EvEELb0ELb1EEEvPKT0_S3C_T1_PT2_T3_T4_T5_iT6_T7_T8_T9_T10_T11_,comdat
.Lfunc_end11:
	.size	_ZN2ck16tensor_operation6device12_GLOBAL__N_137kernel_grouped_conv_fwd_dl_multiple_dINS_32GridwiseGemmDlMultipleD_km_kn_mnILi256EffNS_5TupleIJfEEEfNS0_12element_wise11PassThroughES8_NS7_7AddReluELNS_25InMemoryDataOperationEnumE0ENS_16TensorDescriptorINS5_IJNS_5EmbedINS5_IJiiiiEEESD_Lb0EEENS_11PassThroughIiEENS_3PadIiiiLb0EEESI_SG_SG_NSC_INS5_IJiiEEESJ_Lb0EEESK_SG_NS_23Merge_v2_magic_divisionINS5_IJiiiEEEEESN_NS_8RightPadIiiLb0EEESP_NS_7UnMergeISJ_Lb0EEESG_EEENS5_IJNS_8SequenceIJLi0EEEENST_IJLi1EEEENST_IJLi2EEEENST_IJLi3EEEENST_IJLi4EEEENST_IJLi5EEEENST_IJLi6EEEENST_IJLi7EEEENST_IJLi8EEEENST_IJLi9ELi11ELi13EEEENST_IJLi10ELi12ELi14EEEENST_IJLi15EEEENST_IJLi16EEEENST_IJLi18EEEENST_IJLi17EEEEEEENS5_IJNST_IJLi1ELi2ELi3ELi4EEEESZ_S10_S11_S12_NST_IJLi9EEEENST_IJLi10ELi11EEEENST_IJLi12ELi13EEEENST_IJLi14EEEES15_S16_S18_S17_NST_IJLi19ELi20EEEENST_IJLi21EEEEEEENST_IJLi19ELi21ELi20EEEElEENSB_INS5_IJSR_SP_SP_SR_SG_EEENS5_IJSU_SV_SW_SY_SX_EEENS5_IJNST_IJLi1ELi2EEEESX_SY_NST_IJLi5ELi6EEEES11_EEENST_IJLi5ELi7ELi6EEEElEENSB_INS5_IJSK_SP_SP_EEENS5_IJSU_SV_SW_EEENS5_IJS1M_SX_SY_EEENST_IJLi3ELi4EEEElEELi128ELi128ELi16ELi1ELi4ELi4ELi1ENST_IJLi8ELi2EEEES1W_NST_IJLi8ELi1ELi1ELi1EEEENST_IJLi2ELi1ELi128ELi1EEEENST_IJLi1ELi2ELi0ELi3EEEES1Z_NST_IJLi4ELi1ELi1ELi1EEEES1Z_NST_IJLi1ELi1ELi1ELi1EEEES1X_S1Y_S1Z_S1Z_S20_S1Z_S21_NST_IJLi0ELi1ELi2ELi3ELi4ELi5EEEELi5ELi4EEEfNS5_IJPKfEEEfS8_S8_S9_NSB_INS5_IJSE_SG_SI_SI_SG_SG_SK_SK_SG_SN_SN_SP_SP_SR_SG_SG_NSQ_INS5_IJiNS_17integral_constantIiLi128EEEEEELb0EEENSF_INS27_IiLi1EEEEEEEENS5_IJSU_SV_SW_SX_SY_SZ_S10_S11_S12_S13_S14_S15_S16_S17_S18_NST_IJLi19EEEES1G_NST_IJLi20EEEEEEENS5_IJS1A_SZ_S10_S11_S12_S1B_S1C_S1D_S1E_S15_S16_S18_S17_S1F_S1G_NST_IJLi22EEEENST_IJLi23ELi24EEEENST_IJLi25EEEEEEENST_IJLi22ELi23ELi24ELi25EEEElEENSB_INS5_IJSR_SP_SP_SR_SG_SG_S2A_S2C_EEENS5_IJSU_SV_SW_SY_SX_SZ_S11_S10_EEENS5_IJS1M_SX_SY_S1N_S11_S12_NST_IJLi9ELi10EEEENST_IJLi11EEEEEEENST_IJLi8ELi9ELi10ELi11EEEElEENS5_IJNSB_INS5_IJSK_SP_SP_NSQ_INS5_IJiNS27_IiLi2EEENS27_IiLi64EEEEEELb0EEES2X_EEENS5_IJSU_SV_SW_SX_SY_EEENS5_IJS1M_SX_SY_NST_IJLi5ELi6ELi7EEEENST_IJLi8ELi9ELi10EEEEEEENST_IJLi5ELi6ELi7ELi8ELi9ELi10EEEElEEEEES34_NS_31BlockToCTileMap_M00_N00_M01_N01ILi128ELi128ES1V_Lb0EEENS1_30ComputePtrOffsetOfStridedBatchILi1ELi1ELi1EvEELb0ELb1EEEvPKT0_S3C_T1_PT2_T3_T4_T5_iT6_T7_T8_T9_T10_T11_, .Lfunc_end11-_ZN2ck16tensor_operation6device12_GLOBAL__N_137kernel_grouped_conv_fwd_dl_multiple_dINS_32GridwiseGemmDlMultipleD_km_kn_mnILi256EffNS_5TupleIJfEEEfNS0_12element_wise11PassThroughES8_NS7_7AddReluELNS_25InMemoryDataOperationEnumE0ENS_16TensorDescriptorINS5_IJNS_5EmbedINS5_IJiiiiEEESD_Lb0EEENS_11PassThroughIiEENS_3PadIiiiLb0EEESI_SG_SG_NSC_INS5_IJiiEEESJ_Lb0EEESK_SG_NS_23Merge_v2_magic_divisionINS5_IJiiiEEEEESN_NS_8RightPadIiiLb0EEESP_NS_7UnMergeISJ_Lb0EEESG_EEENS5_IJNS_8SequenceIJLi0EEEENST_IJLi1EEEENST_IJLi2EEEENST_IJLi3EEEENST_IJLi4EEEENST_IJLi5EEEENST_IJLi6EEEENST_IJLi7EEEENST_IJLi8EEEENST_IJLi9ELi11ELi13EEEENST_IJLi10ELi12ELi14EEEENST_IJLi15EEEENST_IJLi16EEEENST_IJLi18EEEENST_IJLi17EEEEEEENS5_IJNST_IJLi1ELi2ELi3ELi4EEEESZ_S10_S11_S12_NST_IJLi9EEEENST_IJLi10ELi11EEEENST_IJLi12ELi13EEEENST_IJLi14EEEES15_S16_S18_S17_NST_IJLi19ELi20EEEENST_IJLi21EEEEEEENST_IJLi19ELi21ELi20EEEElEENSB_INS5_IJSR_SP_SP_SR_SG_EEENS5_IJSU_SV_SW_SY_SX_EEENS5_IJNST_IJLi1ELi2EEEESX_SY_NST_IJLi5ELi6EEEES11_EEENST_IJLi5ELi7ELi6EEEElEENSB_INS5_IJSK_SP_SP_EEENS5_IJSU_SV_SW_EEENS5_IJS1M_SX_SY_EEENST_IJLi3ELi4EEEElEELi128ELi128ELi16ELi1ELi4ELi4ELi1ENST_IJLi8ELi2EEEES1W_NST_IJLi8ELi1ELi1ELi1EEEENST_IJLi2ELi1ELi128ELi1EEEENST_IJLi1ELi2ELi0ELi3EEEES1Z_NST_IJLi4ELi1ELi1ELi1EEEES1Z_NST_IJLi1ELi1ELi1ELi1EEEES1X_S1Y_S1Z_S1Z_S20_S1Z_S21_NST_IJLi0ELi1ELi2ELi3ELi4ELi5EEEELi5ELi4EEEfNS5_IJPKfEEEfS8_S8_S9_NSB_INS5_IJSE_SG_SI_SI_SG_SG_SK_SK_SG_SN_SN_SP_SP_SR_SG_SG_NSQ_INS5_IJiNS_17integral_constantIiLi128EEEEEELb0EEENSF_INS27_IiLi1EEEEEEEENS5_IJSU_SV_SW_SX_SY_SZ_S10_S11_S12_S13_S14_S15_S16_S17_S18_NST_IJLi19EEEES1G_NST_IJLi20EEEEEEENS5_IJS1A_SZ_S10_S11_S12_S1B_S1C_S1D_S1E_S15_S16_S18_S17_S1F_S1G_NST_IJLi22EEEENST_IJLi23ELi24EEEENST_IJLi25EEEEEEENST_IJLi22ELi23ELi24ELi25EEEElEENSB_INS5_IJSR_SP_SP_SR_SG_SG_S2A_S2C_EEENS5_IJSU_SV_SW_SY_SX_SZ_S11_S10_EEENS5_IJS1M_SX_SY_S1N_S11_S12_NST_IJLi9ELi10EEEENST_IJLi11EEEEEEENST_IJLi8ELi9ELi10ELi11EEEElEENS5_IJNSB_INS5_IJSK_SP_SP_NSQ_INS5_IJiNS27_IiLi2EEENS27_IiLi64EEEEEELb0EEES2X_EEENS5_IJSU_SV_SW_SX_SY_EEENS5_IJS1M_SX_SY_NST_IJLi5ELi6ELi7EEEENST_IJLi8ELi9ELi10EEEEEEENST_IJLi5ELi6ELi7ELi8ELi9ELi10EEEElEEEEES34_NS_31BlockToCTileMap_M00_N00_M01_N01ILi128ELi128ES1V_Lb0EEENS1_30ComputePtrOffsetOfStridedBatchILi1ELi1ELi1EvEELb0ELb1EEEvPKT0_S3C_T1_PT2_T3_T4_T5_iT6_T7_T8_T9_T10_T11_
                                        ; -- End function
	.section	.AMDGPU.csdata,"",@progbits
; Kernel info:
; codeLenInByte = 47440
; NumSgprs: 60
; NumVgprs: 132
; ScratchSize: 0
; MemoryBound: 0
; FloatMode: 240
; IeeeMode: 1
; LDSByteSize: 32768 bytes/workgroup (compile time only)
; SGPRBlocks: 7
; VGPRBlocks: 16
; NumSGPRsForWavesPerEU: 60
; NumVGPRsForWavesPerEU: 132
; Occupancy: 8
; WaveLimiterHint : 0
; COMPUTE_PGM_RSRC2:SCRATCH_EN: 0
; COMPUTE_PGM_RSRC2:USER_SGPR: 15
; COMPUTE_PGM_RSRC2:TRAP_HANDLER: 0
; COMPUTE_PGM_RSRC2:TGID_X_EN: 1
; COMPUTE_PGM_RSRC2:TGID_Y_EN: 0
; COMPUTE_PGM_RSRC2:TGID_Z_EN: 0
; COMPUTE_PGM_RSRC2:TIDIG_COMP_CNT: 0
	.section	.text._ZN2ck16tensor_operation6device12_GLOBAL__N_137kernel_grouped_conv_fwd_dl_multiple_dINS_32GridwiseGemmDlMultipleD_km_kn_mnILi256EffNS_5TupleIJfEEEfNS0_12element_wise11PassThroughES8_NS7_7AddReluELNS_25InMemoryDataOperationEnumE0ENS_16TensorDescriptorINS5_IJNS_5EmbedINS5_IJiiiiEEESD_Lb0EEENS_11PassThroughIiEENS_3PadIiiiLb0EEESI_SG_SG_NSC_INS5_IJiiEEESJ_Lb0EEESK_SG_NS_23Merge_v2_magic_divisionINS5_IJiiiEEEEESN_NS_8RightPadIiiLb0EEESP_NS_7UnMergeISJ_Lb0EEESG_EEENS5_IJNS_8SequenceIJLi0EEEENST_IJLi1EEEENST_IJLi2EEEENST_IJLi3EEEENST_IJLi4EEEENST_IJLi5EEEENST_IJLi6EEEENST_IJLi7EEEENST_IJLi8EEEENST_IJLi9ELi11ELi13EEEENST_IJLi10ELi12ELi14EEEENST_IJLi15EEEENST_IJLi16EEEENST_IJLi18EEEENST_IJLi17EEEEEEENS5_IJNST_IJLi1ELi2ELi3ELi4EEEESZ_S10_S11_S12_NST_IJLi9EEEENST_IJLi10ELi11EEEENST_IJLi12ELi13EEEENST_IJLi14EEEES15_S16_S18_S17_NST_IJLi19ELi20EEEENST_IJLi21EEEEEEENST_IJLi19ELi21ELi20EEEElEENSB_INS5_IJSR_SP_SP_SR_SG_EEENS5_IJSU_SV_SW_SY_SX_EEENS5_IJNST_IJLi1ELi2EEEESX_SY_NST_IJLi5ELi6EEEES11_EEENST_IJLi5ELi7ELi6EEEElEENSB_INS5_IJSK_SP_SP_EEENS5_IJSU_SV_SW_EEENS5_IJS1M_SX_SY_EEENST_IJLi3ELi4EEEElEELi128ELi128ELi16ELi1ELi4ELi4ELi1ENST_IJLi8ELi2EEEES1W_NST_IJLi8ELi1ELi1ELi1EEEENST_IJLi2ELi1ELi128ELi1EEEENST_IJLi1ELi2ELi0ELi3EEEES1Z_NST_IJLi4ELi1ELi1ELi1EEEES1Z_NST_IJLi1ELi1ELi1ELi1EEEES1X_S1Y_S1Z_S1Z_S20_S1Z_S21_NST_IJLi0ELi1ELi2ELi3ELi4ELi5EEEELi5ELi4EEEfNS5_IJPKfEEEfS8_S8_S9_NSB_INS5_IJSE_SG_SI_SI_SG_SG_SK_SK_SG_SN_SN_SP_SP_SR_SG_SG_NSQ_INS5_IJiNS_17integral_constantIiLi128EEEEEELb0EEENSF_INS27_IiLi1EEEEEEEENS5_IJSU_SV_SW_SX_SY_SZ_S10_S11_S12_S13_S14_S15_S16_S17_S18_NST_IJLi19EEEES1G_NST_IJLi20EEEEEEENS5_IJS1A_SZ_S10_S11_S12_S1B_S1C_S1D_S1E_S15_S16_S18_S17_S1F_S1G_NST_IJLi22EEEENST_IJLi23ELi24EEEENST_IJLi25EEEEEEENST_IJLi22ELi23ELi24ELi25EEEElEENSB_INS5_IJSR_SP_SP_SR_SG_SG_S2A_S2C_EEENS5_IJSU_SV_SW_SY_SX_SZ_S11_S10_EEENS5_IJS1M_SX_SY_S1N_S11_S12_NST_IJLi9ELi10EEEENST_IJLi11EEEEEEENST_IJLi8ELi9ELi10ELi11EEEElEENS5_IJNSB_INS5_IJSK_SP_SP_NSQ_INS5_IJiNS27_IiLi2EEENS27_IiLi64EEEEEELb0EEES2X_EEENS5_IJSU_SV_SW_SX_SY_EEENS5_IJS1M_SX_SY_NST_IJLi5ELi6ELi7EEEENST_IJLi8ELi9ELi10EEEEEEENST_IJLi5ELi6ELi7ELi8ELi9ELi10EEEElEEEEES34_NS_31BlockToCTileMap_M00_N00_M01_N01ILi128ELi128ES1V_Lb0EEENS1_30ComputePtrOffsetOfStridedBatchILi1ELi1ELi1EvEELb0ELb0EEEvPKT0_S3C_T1_PT2_T3_T4_T5_iT6_T7_T8_T9_T10_T11_,"axG",@progbits,_ZN2ck16tensor_operation6device12_GLOBAL__N_137kernel_grouped_conv_fwd_dl_multiple_dINS_32GridwiseGemmDlMultipleD_km_kn_mnILi256EffNS_5TupleIJfEEEfNS0_12element_wise11PassThroughES8_NS7_7AddReluELNS_25InMemoryDataOperationEnumE0ENS_16TensorDescriptorINS5_IJNS_5EmbedINS5_IJiiiiEEESD_Lb0EEENS_11PassThroughIiEENS_3PadIiiiLb0EEESI_SG_SG_NSC_INS5_IJiiEEESJ_Lb0EEESK_SG_NS_23Merge_v2_magic_divisionINS5_IJiiiEEEEESN_NS_8RightPadIiiLb0EEESP_NS_7UnMergeISJ_Lb0EEESG_EEENS5_IJNS_8SequenceIJLi0EEEENST_IJLi1EEEENST_IJLi2EEEENST_IJLi3EEEENST_IJLi4EEEENST_IJLi5EEEENST_IJLi6EEEENST_IJLi7EEEENST_IJLi8EEEENST_IJLi9ELi11ELi13EEEENST_IJLi10ELi12ELi14EEEENST_IJLi15EEEENST_IJLi16EEEENST_IJLi18EEEENST_IJLi17EEEEEEENS5_IJNST_IJLi1ELi2ELi3ELi4EEEESZ_S10_S11_S12_NST_IJLi9EEEENST_IJLi10ELi11EEEENST_IJLi12ELi13EEEENST_IJLi14EEEES15_S16_S18_S17_NST_IJLi19ELi20EEEENST_IJLi21EEEEEEENST_IJLi19ELi21ELi20EEEElEENSB_INS5_IJSR_SP_SP_SR_SG_EEENS5_IJSU_SV_SW_SY_SX_EEENS5_IJNST_IJLi1ELi2EEEESX_SY_NST_IJLi5ELi6EEEES11_EEENST_IJLi5ELi7ELi6EEEElEENSB_INS5_IJSK_SP_SP_EEENS5_IJSU_SV_SW_EEENS5_IJS1M_SX_SY_EEENST_IJLi3ELi4EEEElEELi128ELi128ELi16ELi1ELi4ELi4ELi1ENST_IJLi8ELi2EEEES1W_NST_IJLi8ELi1ELi1ELi1EEEENST_IJLi2ELi1ELi128ELi1EEEENST_IJLi1ELi2ELi0ELi3EEEES1Z_NST_IJLi4ELi1ELi1ELi1EEEES1Z_NST_IJLi1ELi1ELi1ELi1EEEES1X_S1Y_S1Z_S1Z_S20_S1Z_S21_NST_IJLi0ELi1ELi2ELi3ELi4ELi5EEEELi5ELi4EEEfNS5_IJPKfEEEfS8_S8_S9_NSB_INS5_IJSE_SG_SI_SI_SG_SG_SK_SK_SG_SN_SN_SP_SP_SR_SG_SG_NSQ_INS5_IJiNS_17integral_constantIiLi128EEEEEELb0EEENSF_INS27_IiLi1EEEEEEEENS5_IJSU_SV_SW_SX_SY_SZ_S10_S11_S12_S13_S14_S15_S16_S17_S18_NST_IJLi19EEEES1G_NST_IJLi20EEEEEEENS5_IJS1A_SZ_S10_S11_S12_S1B_S1C_S1D_S1E_S15_S16_S18_S17_S1F_S1G_NST_IJLi22EEEENST_IJLi23ELi24EEEENST_IJLi25EEEEEEENST_IJLi22ELi23ELi24ELi25EEEElEENSB_INS5_IJSR_SP_SP_SR_SG_SG_S2A_S2C_EEENS5_IJSU_SV_SW_SY_SX_SZ_S11_S10_EEENS5_IJS1M_SX_SY_S1N_S11_S12_NST_IJLi9ELi10EEEENST_IJLi11EEEEEEENST_IJLi8ELi9ELi10ELi11EEEElEENS5_IJNSB_INS5_IJSK_SP_SP_NSQ_INS5_IJiNS27_IiLi2EEENS27_IiLi64EEEEEELb0EEES2X_EEENS5_IJSU_SV_SW_SX_SY_EEENS5_IJS1M_SX_SY_NST_IJLi5ELi6ELi7EEEENST_IJLi8ELi9ELi10EEEEEEENST_IJLi5ELi6ELi7ELi8ELi9ELi10EEEElEEEEES34_NS_31BlockToCTileMap_M00_N00_M01_N01ILi128ELi128ES1V_Lb0EEENS1_30ComputePtrOffsetOfStridedBatchILi1ELi1ELi1EvEELb0ELb0EEEvPKT0_S3C_T1_PT2_T3_T4_T5_iT6_T7_T8_T9_T10_T11_,comdat
	.globl	_ZN2ck16tensor_operation6device12_GLOBAL__N_137kernel_grouped_conv_fwd_dl_multiple_dINS_32GridwiseGemmDlMultipleD_km_kn_mnILi256EffNS_5TupleIJfEEEfNS0_12element_wise11PassThroughES8_NS7_7AddReluELNS_25InMemoryDataOperationEnumE0ENS_16TensorDescriptorINS5_IJNS_5EmbedINS5_IJiiiiEEESD_Lb0EEENS_11PassThroughIiEENS_3PadIiiiLb0EEESI_SG_SG_NSC_INS5_IJiiEEESJ_Lb0EEESK_SG_NS_23Merge_v2_magic_divisionINS5_IJiiiEEEEESN_NS_8RightPadIiiLb0EEESP_NS_7UnMergeISJ_Lb0EEESG_EEENS5_IJNS_8SequenceIJLi0EEEENST_IJLi1EEEENST_IJLi2EEEENST_IJLi3EEEENST_IJLi4EEEENST_IJLi5EEEENST_IJLi6EEEENST_IJLi7EEEENST_IJLi8EEEENST_IJLi9ELi11ELi13EEEENST_IJLi10ELi12ELi14EEEENST_IJLi15EEEENST_IJLi16EEEENST_IJLi18EEEENST_IJLi17EEEEEEENS5_IJNST_IJLi1ELi2ELi3ELi4EEEESZ_S10_S11_S12_NST_IJLi9EEEENST_IJLi10ELi11EEEENST_IJLi12ELi13EEEENST_IJLi14EEEES15_S16_S18_S17_NST_IJLi19ELi20EEEENST_IJLi21EEEEEEENST_IJLi19ELi21ELi20EEEElEENSB_INS5_IJSR_SP_SP_SR_SG_EEENS5_IJSU_SV_SW_SY_SX_EEENS5_IJNST_IJLi1ELi2EEEESX_SY_NST_IJLi5ELi6EEEES11_EEENST_IJLi5ELi7ELi6EEEElEENSB_INS5_IJSK_SP_SP_EEENS5_IJSU_SV_SW_EEENS5_IJS1M_SX_SY_EEENST_IJLi3ELi4EEEElEELi128ELi128ELi16ELi1ELi4ELi4ELi1ENST_IJLi8ELi2EEEES1W_NST_IJLi8ELi1ELi1ELi1EEEENST_IJLi2ELi1ELi128ELi1EEEENST_IJLi1ELi2ELi0ELi3EEEES1Z_NST_IJLi4ELi1ELi1ELi1EEEES1Z_NST_IJLi1ELi1ELi1ELi1EEEES1X_S1Y_S1Z_S1Z_S20_S1Z_S21_NST_IJLi0ELi1ELi2ELi3ELi4ELi5EEEELi5ELi4EEEfNS5_IJPKfEEEfS8_S8_S9_NSB_INS5_IJSE_SG_SI_SI_SG_SG_SK_SK_SG_SN_SN_SP_SP_SR_SG_SG_NSQ_INS5_IJiNS_17integral_constantIiLi128EEEEEELb0EEENSF_INS27_IiLi1EEEEEEEENS5_IJSU_SV_SW_SX_SY_SZ_S10_S11_S12_S13_S14_S15_S16_S17_S18_NST_IJLi19EEEES1G_NST_IJLi20EEEEEEENS5_IJS1A_SZ_S10_S11_S12_S1B_S1C_S1D_S1E_S15_S16_S18_S17_S1F_S1G_NST_IJLi22EEEENST_IJLi23ELi24EEEENST_IJLi25EEEEEEENST_IJLi22ELi23ELi24ELi25EEEElEENSB_INS5_IJSR_SP_SP_SR_SG_SG_S2A_S2C_EEENS5_IJSU_SV_SW_SY_SX_SZ_S11_S10_EEENS5_IJS1M_SX_SY_S1N_S11_S12_NST_IJLi9ELi10EEEENST_IJLi11EEEEEEENST_IJLi8ELi9ELi10ELi11EEEElEENS5_IJNSB_INS5_IJSK_SP_SP_NSQ_INS5_IJiNS27_IiLi2EEENS27_IiLi64EEEEEELb0EEES2X_EEENS5_IJSU_SV_SW_SX_SY_EEENS5_IJS1M_SX_SY_NST_IJLi5ELi6ELi7EEEENST_IJLi8ELi9ELi10EEEEEEENST_IJLi5ELi6ELi7ELi8ELi9ELi10EEEElEEEEES34_NS_31BlockToCTileMap_M00_N00_M01_N01ILi128ELi128ES1V_Lb0EEENS1_30ComputePtrOffsetOfStridedBatchILi1ELi1ELi1EvEELb0ELb0EEEvPKT0_S3C_T1_PT2_T3_T4_T5_iT6_T7_T8_T9_T10_T11_ ; -- Begin function _ZN2ck16tensor_operation6device12_GLOBAL__N_137kernel_grouped_conv_fwd_dl_multiple_dINS_32GridwiseGemmDlMultipleD_km_kn_mnILi256EffNS_5TupleIJfEEEfNS0_12element_wise11PassThroughES8_NS7_7AddReluELNS_25InMemoryDataOperationEnumE0ENS_16TensorDescriptorINS5_IJNS_5EmbedINS5_IJiiiiEEESD_Lb0EEENS_11PassThroughIiEENS_3PadIiiiLb0EEESI_SG_SG_NSC_INS5_IJiiEEESJ_Lb0EEESK_SG_NS_23Merge_v2_magic_divisionINS5_IJiiiEEEEESN_NS_8RightPadIiiLb0EEESP_NS_7UnMergeISJ_Lb0EEESG_EEENS5_IJNS_8SequenceIJLi0EEEENST_IJLi1EEEENST_IJLi2EEEENST_IJLi3EEEENST_IJLi4EEEENST_IJLi5EEEENST_IJLi6EEEENST_IJLi7EEEENST_IJLi8EEEENST_IJLi9ELi11ELi13EEEENST_IJLi10ELi12ELi14EEEENST_IJLi15EEEENST_IJLi16EEEENST_IJLi18EEEENST_IJLi17EEEEEEENS5_IJNST_IJLi1ELi2ELi3ELi4EEEESZ_S10_S11_S12_NST_IJLi9EEEENST_IJLi10ELi11EEEENST_IJLi12ELi13EEEENST_IJLi14EEEES15_S16_S18_S17_NST_IJLi19ELi20EEEENST_IJLi21EEEEEEENST_IJLi19ELi21ELi20EEEElEENSB_INS5_IJSR_SP_SP_SR_SG_EEENS5_IJSU_SV_SW_SY_SX_EEENS5_IJNST_IJLi1ELi2EEEESX_SY_NST_IJLi5ELi6EEEES11_EEENST_IJLi5ELi7ELi6EEEElEENSB_INS5_IJSK_SP_SP_EEENS5_IJSU_SV_SW_EEENS5_IJS1M_SX_SY_EEENST_IJLi3ELi4EEEElEELi128ELi128ELi16ELi1ELi4ELi4ELi1ENST_IJLi8ELi2EEEES1W_NST_IJLi8ELi1ELi1ELi1EEEENST_IJLi2ELi1ELi128ELi1EEEENST_IJLi1ELi2ELi0ELi3EEEES1Z_NST_IJLi4ELi1ELi1ELi1EEEES1Z_NST_IJLi1ELi1ELi1ELi1EEEES1X_S1Y_S1Z_S1Z_S20_S1Z_S21_NST_IJLi0ELi1ELi2ELi3ELi4ELi5EEEELi5ELi4EEEfNS5_IJPKfEEEfS8_S8_S9_NSB_INS5_IJSE_SG_SI_SI_SG_SG_SK_SK_SG_SN_SN_SP_SP_SR_SG_SG_NSQ_INS5_IJiNS_17integral_constantIiLi128EEEEEELb0EEENSF_INS27_IiLi1EEEEEEEENS5_IJSU_SV_SW_SX_SY_SZ_S10_S11_S12_S13_S14_S15_S16_S17_S18_NST_IJLi19EEEES1G_NST_IJLi20EEEEEEENS5_IJS1A_SZ_S10_S11_S12_S1B_S1C_S1D_S1E_S15_S16_S18_S17_S1F_S1G_NST_IJLi22EEEENST_IJLi23ELi24EEEENST_IJLi25EEEEEEENST_IJLi22ELi23ELi24ELi25EEEElEENSB_INS5_IJSR_SP_SP_SR_SG_SG_S2A_S2C_EEENS5_IJSU_SV_SW_SY_SX_SZ_S11_S10_EEENS5_IJS1M_SX_SY_S1N_S11_S12_NST_IJLi9ELi10EEEENST_IJLi11EEEEEEENST_IJLi8ELi9ELi10ELi11EEEElEENS5_IJNSB_INS5_IJSK_SP_SP_NSQ_INS5_IJiNS27_IiLi2EEENS27_IiLi64EEEEEELb0EEES2X_EEENS5_IJSU_SV_SW_SX_SY_EEENS5_IJS1M_SX_SY_NST_IJLi5ELi6ELi7EEEENST_IJLi8ELi9ELi10EEEEEEENST_IJLi5ELi6ELi7ELi8ELi9ELi10EEEElEEEEES34_NS_31BlockToCTileMap_M00_N00_M01_N01ILi128ELi128ES1V_Lb0EEENS1_30ComputePtrOffsetOfStridedBatchILi1ELi1ELi1EvEELb0ELb0EEEvPKT0_S3C_T1_PT2_T3_T4_T5_iT6_T7_T8_T9_T10_T11_
	.p2align	8
	.type	_ZN2ck16tensor_operation6device12_GLOBAL__N_137kernel_grouped_conv_fwd_dl_multiple_dINS_32GridwiseGemmDlMultipleD_km_kn_mnILi256EffNS_5TupleIJfEEEfNS0_12element_wise11PassThroughES8_NS7_7AddReluELNS_25InMemoryDataOperationEnumE0ENS_16TensorDescriptorINS5_IJNS_5EmbedINS5_IJiiiiEEESD_Lb0EEENS_11PassThroughIiEENS_3PadIiiiLb0EEESI_SG_SG_NSC_INS5_IJiiEEESJ_Lb0EEESK_SG_NS_23Merge_v2_magic_divisionINS5_IJiiiEEEEESN_NS_8RightPadIiiLb0EEESP_NS_7UnMergeISJ_Lb0EEESG_EEENS5_IJNS_8SequenceIJLi0EEEENST_IJLi1EEEENST_IJLi2EEEENST_IJLi3EEEENST_IJLi4EEEENST_IJLi5EEEENST_IJLi6EEEENST_IJLi7EEEENST_IJLi8EEEENST_IJLi9ELi11ELi13EEEENST_IJLi10ELi12ELi14EEEENST_IJLi15EEEENST_IJLi16EEEENST_IJLi18EEEENST_IJLi17EEEEEEENS5_IJNST_IJLi1ELi2ELi3ELi4EEEESZ_S10_S11_S12_NST_IJLi9EEEENST_IJLi10ELi11EEEENST_IJLi12ELi13EEEENST_IJLi14EEEES15_S16_S18_S17_NST_IJLi19ELi20EEEENST_IJLi21EEEEEEENST_IJLi19ELi21ELi20EEEElEENSB_INS5_IJSR_SP_SP_SR_SG_EEENS5_IJSU_SV_SW_SY_SX_EEENS5_IJNST_IJLi1ELi2EEEESX_SY_NST_IJLi5ELi6EEEES11_EEENST_IJLi5ELi7ELi6EEEElEENSB_INS5_IJSK_SP_SP_EEENS5_IJSU_SV_SW_EEENS5_IJS1M_SX_SY_EEENST_IJLi3ELi4EEEElEELi128ELi128ELi16ELi1ELi4ELi4ELi1ENST_IJLi8ELi2EEEES1W_NST_IJLi8ELi1ELi1ELi1EEEENST_IJLi2ELi1ELi128ELi1EEEENST_IJLi1ELi2ELi0ELi3EEEES1Z_NST_IJLi4ELi1ELi1ELi1EEEES1Z_NST_IJLi1ELi1ELi1ELi1EEEES1X_S1Y_S1Z_S1Z_S20_S1Z_S21_NST_IJLi0ELi1ELi2ELi3ELi4ELi5EEEELi5ELi4EEEfNS5_IJPKfEEEfS8_S8_S9_NSB_INS5_IJSE_SG_SI_SI_SG_SG_SK_SK_SG_SN_SN_SP_SP_SR_SG_SG_NSQ_INS5_IJiNS_17integral_constantIiLi128EEEEEELb0EEENSF_INS27_IiLi1EEEEEEEENS5_IJSU_SV_SW_SX_SY_SZ_S10_S11_S12_S13_S14_S15_S16_S17_S18_NST_IJLi19EEEES1G_NST_IJLi20EEEEEEENS5_IJS1A_SZ_S10_S11_S12_S1B_S1C_S1D_S1E_S15_S16_S18_S17_S1F_S1G_NST_IJLi22EEEENST_IJLi23ELi24EEEENST_IJLi25EEEEEEENST_IJLi22ELi23ELi24ELi25EEEElEENSB_INS5_IJSR_SP_SP_SR_SG_SG_S2A_S2C_EEENS5_IJSU_SV_SW_SY_SX_SZ_S11_S10_EEENS5_IJS1M_SX_SY_S1N_S11_S12_NST_IJLi9ELi10EEEENST_IJLi11EEEEEEENST_IJLi8ELi9ELi10ELi11EEEElEENS5_IJNSB_INS5_IJSK_SP_SP_NSQ_INS5_IJiNS27_IiLi2EEENS27_IiLi64EEEEEELb0EEES2X_EEENS5_IJSU_SV_SW_SX_SY_EEENS5_IJS1M_SX_SY_NST_IJLi5ELi6ELi7EEEENST_IJLi8ELi9ELi10EEEEEEENST_IJLi5ELi6ELi7ELi8ELi9ELi10EEEElEEEEES34_NS_31BlockToCTileMap_M00_N00_M01_N01ILi128ELi128ES1V_Lb0EEENS1_30ComputePtrOffsetOfStridedBatchILi1ELi1ELi1EvEELb0ELb0EEEvPKT0_S3C_T1_PT2_T3_T4_T5_iT6_T7_T8_T9_T10_T11_,@function
_ZN2ck16tensor_operation6device12_GLOBAL__N_137kernel_grouped_conv_fwd_dl_multiple_dINS_32GridwiseGemmDlMultipleD_km_kn_mnILi256EffNS_5TupleIJfEEEfNS0_12element_wise11PassThroughES8_NS7_7AddReluELNS_25InMemoryDataOperationEnumE0ENS_16TensorDescriptorINS5_IJNS_5EmbedINS5_IJiiiiEEESD_Lb0EEENS_11PassThroughIiEENS_3PadIiiiLb0EEESI_SG_SG_NSC_INS5_IJiiEEESJ_Lb0EEESK_SG_NS_23Merge_v2_magic_divisionINS5_IJiiiEEEEESN_NS_8RightPadIiiLb0EEESP_NS_7UnMergeISJ_Lb0EEESG_EEENS5_IJNS_8SequenceIJLi0EEEENST_IJLi1EEEENST_IJLi2EEEENST_IJLi3EEEENST_IJLi4EEEENST_IJLi5EEEENST_IJLi6EEEENST_IJLi7EEEENST_IJLi8EEEENST_IJLi9ELi11ELi13EEEENST_IJLi10ELi12ELi14EEEENST_IJLi15EEEENST_IJLi16EEEENST_IJLi18EEEENST_IJLi17EEEEEEENS5_IJNST_IJLi1ELi2ELi3ELi4EEEESZ_S10_S11_S12_NST_IJLi9EEEENST_IJLi10ELi11EEEENST_IJLi12ELi13EEEENST_IJLi14EEEES15_S16_S18_S17_NST_IJLi19ELi20EEEENST_IJLi21EEEEEEENST_IJLi19ELi21ELi20EEEElEENSB_INS5_IJSR_SP_SP_SR_SG_EEENS5_IJSU_SV_SW_SY_SX_EEENS5_IJNST_IJLi1ELi2EEEESX_SY_NST_IJLi5ELi6EEEES11_EEENST_IJLi5ELi7ELi6EEEElEENSB_INS5_IJSK_SP_SP_EEENS5_IJSU_SV_SW_EEENS5_IJS1M_SX_SY_EEENST_IJLi3ELi4EEEElEELi128ELi128ELi16ELi1ELi4ELi4ELi1ENST_IJLi8ELi2EEEES1W_NST_IJLi8ELi1ELi1ELi1EEEENST_IJLi2ELi1ELi128ELi1EEEENST_IJLi1ELi2ELi0ELi3EEEES1Z_NST_IJLi4ELi1ELi1ELi1EEEES1Z_NST_IJLi1ELi1ELi1ELi1EEEES1X_S1Y_S1Z_S1Z_S20_S1Z_S21_NST_IJLi0ELi1ELi2ELi3ELi4ELi5EEEELi5ELi4EEEfNS5_IJPKfEEEfS8_S8_S9_NSB_INS5_IJSE_SG_SI_SI_SG_SG_SK_SK_SG_SN_SN_SP_SP_SR_SG_SG_NSQ_INS5_IJiNS_17integral_constantIiLi128EEEEEELb0EEENSF_INS27_IiLi1EEEEEEEENS5_IJSU_SV_SW_SX_SY_SZ_S10_S11_S12_S13_S14_S15_S16_S17_S18_NST_IJLi19EEEES1G_NST_IJLi20EEEEEEENS5_IJS1A_SZ_S10_S11_S12_S1B_S1C_S1D_S1E_S15_S16_S18_S17_S1F_S1G_NST_IJLi22EEEENST_IJLi23ELi24EEEENST_IJLi25EEEEEEENST_IJLi22ELi23ELi24ELi25EEEElEENSB_INS5_IJSR_SP_SP_SR_SG_SG_S2A_S2C_EEENS5_IJSU_SV_SW_SY_SX_SZ_S11_S10_EEENS5_IJS1M_SX_SY_S1N_S11_S12_NST_IJLi9ELi10EEEENST_IJLi11EEEEEEENST_IJLi8ELi9ELi10ELi11EEEElEENS5_IJNSB_INS5_IJSK_SP_SP_NSQ_INS5_IJiNS27_IiLi2EEENS27_IiLi64EEEEEELb0EEES2X_EEENS5_IJSU_SV_SW_SX_SY_EEENS5_IJS1M_SX_SY_NST_IJLi5ELi6ELi7EEEENST_IJLi8ELi9ELi10EEEEEEENST_IJLi5ELi6ELi7ELi8ELi9ELi10EEEElEEEEES34_NS_31BlockToCTileMap_M00_N00_M01_N01ILi128ELi128ES1V_Lb0EEENS1_30ComputePtrOffsetOfStridedBatchILi1ELi1ELi1EvEELb0ELb0EEEvPKT0_S3C_T1_PT2_T3_T4_T5_iT6_T7_T8_T9_T10_T11_: ; @_ZN2ck16tensor_operation6device12_GLOBAL__N_137kernel_grouped_conv_fwd_dl_multiple_dINS_32GridwiseGemmDlMultipleD_km_kn_mnILi256EffNS_5TupleIJfEEEfNS0_12element_wise11PassThroughES8_NS7_7AddReluELNS_25InMemoryDataOperationEnumE0ENS_16TensorDescriptorINS5_IJNS_5EmbedINS5_IJiiiiEEESD_Lb0EEENS_11PassThroughIiEENS_3PadIiiiLb0EEESI_SG_SG_NSC_INS5_IJiiEEESJ_Lb0EEESK_SG_NS_23Merge_v2_magic_divisionINS5_IJiiiEEEEESN_NS_8RightPadIiiLb0EEESP_NS_7UnMergeISJ_Lb0EEESG_EEENS5_IJNS_8SequenceIJLi0EEEENST_IJLi1EEEENST_IJLi2EEEENST_IJLi3EEEENST_IJLi4EEEENST_IJLi5EEEENST_IJLi6EEEENST_IJLi7EEEENST_IJLi8EEEENST_IJLi9ELi11ELi13EEEENST_IJLi10ELi12ELi14EEEENST_IJLi15EEEENST_IJLi16EEEENST_IJLi18EEEENST_IJLi17EEEEEEENS5_IJNST_IJLi1ELi2ELi3ELi4EEEESZ_S10_S11_S12_NST_IJLi9EEEENST_IJLi10ELi11EEEENST_IJLi12ELi13EEEENST_IJLi14EEEES15_S16_S18_S17_NST_IJLi19ELi20EEEENST_IJLi21EEEEEEENST_IJLi19ELi21ELi20EEEElEENSB_INS5_IJSR_SP_SP_SR_SG_EEENS5_IJSU_SV_SW_SY_SX_EEENS5_IJNST_IJLi1ELi2EEEESX_SY_NST_IJLi5ELi6EEEES11_EEENST_IJLi5ELi7ELi6EEEElEENSB_INS5_IJSK_SP_SP_EEENS5_IJSU_SV_SW_EEENS5_IJS1M_SX_SY_EEENST_IJLi3ELi4EEEElEELi128ELi128ELi16ELi1ELi4ELi4ELi1ENST_IJLi8ELi2EEEES1W_NST_IJLi8ELi1ELi1ELi1EEEENST_IJLi2ELi1ELi128ELi1EEEENST_IJLi1ELi2ELi0ELi3EEEES1Z_NST_IJLi4ELi1ELi1ELi1EEEES1Z_NST_IJLi1ELi1ELi1ELi1EEEES1X_S1Y_S1Z_S1Z_S20_S1Z_S21_NST_IJLi0ELi1ELi2ELi3ELi4ELi5EEEELi5ELi4EEEfNS5_IJPKfEEEfS8_S8_S9_NSB_INS5_IJSE_SG_SI_SI_SG_SG_SK_SK_SG_SN_SN_SP_SP_SR_SG_SG_NSQ_INS5_IJiNS_17integral_constantIiLi128EEEEEELb0EEENSF_INS27_IiLi1EEEEEEEENS5_IJSU_SV_SW_SX_SY_SZ_S10_S11_S12_S13_S14_S15_S16_S17_S18_NST_IJLi19EEEES1G_NST_IJLi20EEEEEEENS5_IJS1A_SZ_S10_S11_S12_S1B_S1C_S1D_S1E_S15_S16_S18_S17_S1F_S1G_NST_IJLi22EEEENST_IJLi23ELi24EEEENST_IJLi25EEEEEEENST_IJLi22ELi23ELi24ELi25EEEElEENSB_INS5_IJSR_SP_SP_SR_SG_SG_S2A_S2C_EEENS5_IJSU_SV_SW_SY_SX_SZ_S11_S10_EEENS5_IJS1M_SX_SY_S1N_S11_S12_NST_IJLi9ELi10EEEENST_IJLi11EEEEEEENST_IJLi8ELi9ELi10ELi11EEEElEENS5_IJNSB_INS5_IJSK_SP_SP_NSQ_INS5_IJiNS27_IiLi2EEENS27_IiLi64EEEEEELb0EEES2X_EEENS5_IJSU_SV_SW_SX_SY_EEENS5_IJS1M_SX_SY_NST_IJLi5ELi6ELi7EEEENST_IJLi8ELi9ELi10EEEEEEENST_IJLi5ELi6ELi7ELi8ELi9ELi10EEEElEEEEES34_NS_31BlockToCTileMap_M00_N00_M01_N01ILi128ELi128ES1V_Lb0EEENS1_30ComputePtrOffsetOfStridedBatchILi1ELi1ELi1EvEELb0ELb0EEEvPKT0_S3C_T1_PT2_T3_T4_T5_iT6_T7_T8_T9_T10_T11_
; %bb.0:
	s_clause 0x2
	s_load_b32 s2, s[0:1], 0x24
	s_load_b128 s[24:27], s[0:1], 0x38
	s_load_b32 s4, s[0:1], 0x2c8
	v_lshrrev_b32_e32 v52, 1, v0
	v_lshrrev_b32_e32 v64, 5, v0
	v_mov_b32_e32 v45, 0
	v_mov_b32_e32 v15, 0
	v_dual_mov_b32 v41, 0 :: v_dual_mov_b32 v46, 0
	v_dual_mov_b32 v29, 0 :: v_dual_mov_b32 v30, 0
	;; [unrolled: 1-line block ×7, first 2 shown]
	s_waitcnt lgkmcnt(0)
	s_abs_i32 s3, s2
	s_abs_i32 s7, s4
	v_cvt_f32_u32_e32 v1, s3
	s_sub_i32 s6, 0, s3
	s_xor_b32 s2, s4, s2
	v_dual_mov_b32 v49, 0 :: v_dual_mov_b32 v12, 0
	s_delay_alu instid0(VALU_DEP_2)
	v_rcp_iflag_f32_e32 v1, v1
	s_ashr_i32 s2, s2, 31
	v_mov_b32_e32 v31, 0
	v_mov_b32_e32 v25, 0
	v_dual_mov_b32 v17, 0 :: v_dual_mov_b32 v44, 0
	v_mov_b32_e32 v42, 0
	v_mov_b32_e32 v28, 0
	;; [unrolled: 1-line block ×3, first 2 shown]
	s_delay_alu instid0(TRANS32_DEP_1) | instskip(SKIP_3) | instid1(VALU_DEP_4)
	v_dual_mov_b32 v36, 0 :: v_dual_mul_f32 v1, 0x4f7ffffe, v1
	v_mov_b32_e32 v22, 0
	v_mov_b32_e32 v50, 0
	;; [unrolled: 1-line block ×3, first 2 shown]
	v_cvt_u32_f32_e32 v1, v1
	s_delay_alu instid0(VALU_DEP_1) | instskip(NEXT) | instid1(VALU_DEP_1)
	v_readfirstlane_b32 s5, v1
	s_mul_i32 s6, s6, s5
	s_delay_alu instid0(SALU_CYCLE_1) | instskip(NEXT) | instid1(SALU_CYCLE_1)
	s_mul_hi_u32 s6, s5, s6
	s_add_i32 s5, s5, s6
	s_delay_alu instid0(SALU_CYCLE_1) | instskip(NEXT) | instid1(SALU_CYCLE_1)
	s_mul_hi_u32 s5, s7, s5
	s_mul_i32 s4, s5, s3
	s_add_i32 s6, s5, 1
	s_sub_i32 s4, s7, s4
	s_delay_alu instid0(SALU_CYCLE_1)
	s_sub_i32 s7, s4, s3
	s_cmp_ge_u32 s4, s3
	s_cselect_b32 s5, s6, s5
	s_cselect_b32 s4, s7, s4
	s_add_i32 s6, s5, 1
	s_cmp_ge_u32 s4, s3
	s_cselect_b32 s3, s6, s5
	s_abs_i32 s28, s15
	s_xor_b32 s3, s3, s2
	s_load_b256 s[4:11], s[0:1], 0x0
	s_sub_i32 s12, s3, s2
	s_clause 0x2
	s_load_b64 s[2:3], s[0:1], 0xbc
	s_load_b64 s[44:45], s[0:1], 0xc8
	;; [unrolled: 1-line block ×3, first 2 shown]
	s_abs_i32 s13, s12
	s_xor_b32 s12, s15, s12
	v_cvt_f32_u32_e32 v1, s13
	s_sub_i32 s14, 0, s13
	s_ashr_i32 s12, s12, 31
	s_delay_alu instid0(VALU_DEP_1) | instskip(SKIP_2) | instid1(VALU_DEP_1)
	v_rcp_iflag_f32_e32 v1, v1
	s_waitcnt_depctr 0xfff
	v_mul_f32_e32 v1, 0x4f7ffffe, v1
	v_cvt_u32_f32_e32 v1, v1
	s_delay_alu instid0(VALU_DEP_1) | instskip(SKIP_1) | instid1(VALU_DEP_2)
	v_readfirstlane_b32 s16, v1
	v_lshlrev_b32_e32 v1, 3, v0
	s_mul_i32 s17, s14, s16
	s_clause 0x5
	s_load_b32 s14, s[0:1], 0x100
	s_load_b32 s48, s[0:1], 0x128
	;; [unrolled: 1-line block ×6, first 2 shown]
	s_mul_hi_u32 s17, s16, s17
	s_clause 0x1
	s_load_b128 s[36:39], s[0:1], 0x260
	s_load_b128 s[40:43], s[0:1], 0x274
	s_add_i32 s29, s16, s17
	s_load_b256 s[16:23], s[0:1], 0x2a0
	s_mul_hi_u32 s29, s28, s29
	v_and_b32_e32 v39, 8, v1
	s_mul_i32 s30, s29, s13
	s_delay_alu instid0(SALU_CYCLE_1)
	s_sub_i32 s28, s28, s30
	s_add_i32 s30, s29, 1
	s_sub_i32 s31, s28, s13
	s_cmp_ge_u32 s28, s13
	v_or_b32_e32 v2, 4, v39
	s_cselect_b32 s29, s30, s29
	s_cselect_b32 s28, s31, s28
	s_add_i32 s30, s29, 1
	s_cmp_ge_u32 s28, s13
	s_waitcnt lgkmcnt(0)
	v_mul_lo_u32 v40, s14, v39
	s_cselect_b32 s13, s30, s29
	s_load_b128 s[28:31], s[0:1], 0x288
	s_xor_b32 s13, s13, s12
	v_mul_lo_u32 v51, s14, v2
	s_sub_i32 s33, s13, s12
	v_mul_lo_u32 v32, s49, v39
	s_ashr_i32 s13, s33, 31
	s_mul_hi_u32 s51, s16, s33
	s_mul_i32 s12, s16, s33
	s_mul_hi_u32 s53, s18, s33
	s_mul_hi_u32 s55, s20, s33
	s_mul_i32 s16, s16, s13
	s_mul_i32 s56, s18, s13
	;; [unrolled: 1-line block ×6, first 2 shown]
	s_add_i32 s20, s53, s56
	s_add_i32 s53, s55, s13
	s_mul_hi_u32 s54, s22, s33
	s_mul_i32 s17, s17, s33
	s_add_i32 s16, s51, s16
	s_add_i32 s53, s53, s21
	s_mul_i32 s19, s19, s33
	s_mul_i32 s23, s23, s33
	s_add_i32 s51, s54, s57
	s_add_i32 s13, s16, s17
	s_lshl_b64 s[16:17], s[52:53], 2
	s_add_i32 s19, s20, s19
	s_add_i32 s23, s51, s23
	s_add_u32 s20, s8, s16
	s_addc_u32 s21, s9, s17
	s_lshl_b64 s[8:9], s[12:13], 2
	s_mul_i32 s18, s18, s33
	s_add_u32 s16, s4, s8
	s_addc_u32 s17, s5, s9
	s_lshl_b64 s[4:5], s[18:19], 2
	s_mul_i32 s22, s22, s33
	s_add_u32 s4, s6, s4
	s_addc_u32 s5, s7, s5
	s_lshl_b64 s[6:7], s[22:23], 2
	s_mul_hi_u32 s8, s43, s15
	s_add_u32 s12, s10, s6
	s_addc_u32 s13, s11, s7
	s_add_i32 s6, s15, s8
	s_load_b32 s8, s[0:1], 0x244
	s_waitcnt lgkmcnt(0)
	s_lshr_b32 s18, s6, s31
	v_mul_hi_u32 v1, v40, s45
	s_mul_hi_u32 s6, s18, s42
	s_load_b32 s52, s[0:1], 0x254
	s_add_i32 s9, s18, s6
	s_load_b64 s[6:7], s[0:1], 0xa0
	s_lshr_b32 s51, s9, s30
	s_mov_b32 s19, 0x31004000
	s_mul_hi_u32 s9, s51, s41
	v_add_nc_u32_e32 v1, v40, v1
	s_add_i32 s9, s51, s9
	s_mul_i32 s10, s51, s38
	s_lshr_b32 s53, s9, s29
	s_sub_i32 s10, s18, s10
	s_mul_hi_u32 s9, s53, s40
	v_lshrrev_b32_e32 v4, s35, v1
	s_add_i32 s9, s53, s9
	v_mul_hi_u32 v1, v51, s45
	s_lshr_b32 s9, s9, s28
	s_mul_i32 s18, s18, s39
	s_mul_i32 s9, s9, s36
	v_mul_hi_u32 v2, v4, s44
	s_sub_i32 s9, s53, s9
	s_mul_i32 s53, s53, s37
	s_mul_i32 s9, s9, s8
	v_add_nc_u32_e32 v1, v51, v1
	s_add_i32 s10, s10, s9
	s_load_b64 s[8:9], s[0:1], 0xac
	s_lshl_b32 s23, s10, 7
	s_delay_alu instid0(SALU_CYCLE_1)
	v_or_b32_e32 v62, s23, v52
	v_lshrrev_b32_e32 v6, s35, v1
	v_add_nc_u32_e32 v1, v4, v2
	v_mul_lo_u32 v2, v4, s3
	s_waitcnt lgkmcnt(0)
	v_mul_hi_u32 v3, v62, s7
	v_mul_hi_u32 v5, v6, s44
	v_lshrrev_b32_e32 v7, s34, v1
	s_clause 0x4
	s_load_b64 s[40:41], s[0:1], 0x74
	s_load_b64 s[42:43], s[0:1], 0x84
	;; [unrolled: 1-line block ×3, first 2 shown]
	s_load_b128 s[28:31], s[0:1], 0x4c
	s_load_b64 s[10:11], s[0:1], 0x5c
	s_mov_b32 s7, s19
	v_sub_nc_u32_e32 v1, v40, v2
	v_mul_lo_u32 v8, v7, s2
	v_add_nc_u32_e32 v2, v62, v3
	v_add_nc_u32_e32 v5, v6, v5
	s_delay_alu instid0(VALU_DEP_2) | instskip(SKIP_2) | instid1(VALU_DEP_4)
	v_lshrrev_b32_e32 v9, s9, v2
	v_mad_u64_u32 v[2:3], null, v6, s3, v[1:2]
	v_sub_nc_u32_e32 v3, v4, v8
	v_lshrrev_b32_e32 v10, s34, v5
	s_delay_alu instid0(VALU_DEP_4)
	v_mul_hi_u32 v8, v9, s6
	s_sub_i32 s6, s15, s18
	s_clause 0x4
	s_load_b32 s3, s[0:1], 0x188
	s_load_b64 s[34:35], s[0:1], 0x198
	s_load_b32 s14, s[0:1], 0x1a4
	s_load_b32 s33, s[0:1], 0x1b0
	;; [unrolled: 1-line block ×3, first 2 shown]
	v_mul_lo_u32 v1, v1, s27
	v_mad_u64_u32 v[4:5], null, v10, s2, v[3:4]
	v_sub_nc_u32_e32 v11, v10, v7
	s_waitcnt lgkmcnt(0)
	v_mul_lo_u32 v5, v7, s40
	v_add_nc_u32_e32 v8, v9, v8
	v_sub_nc_u32_e32 v7, v51, v2
	v_mul_lo_u32 v2, v3, s42
	s_sub_i32 s2, s51, s53
	v_sub_nc_u32_e32 v3, v6, v4
	v_lshrrev_b32_e32 v8, s8, v8
	v_mul_lo_u32 v4, v9, s45
	s_mul_i32 s2, s2, s52
	v_mul_lo_u32 v63, v11, s40
	v_mul_lo_u32 v76, v3, s42
	;; [unrolled: 1-line block ×3, first 2 shown]
	s_add_i32 s6, s6, s2
	v_mul_lo_u32 v8, v8, s24
	s_lshl_b32 s15, s6, 7
	v_sub_nc_u32_e32 v3, v62, v4
	v_or_b32_e32 v77, s15, v52
	s_lshl_b32 s8, s49, 2
	s_lshl_b32 s6, s3, 2
	v_sub_nc_u32_e32 v4, v9, v6
	v_mad_u64_u32 v[34:35], null, v3, s43, v[2:3]
	v_mad_u64_u32 v[2:3], null, v77, s50, v[32:33]
	s_delay_alu instid0(VALU_DEP_3)
	v_mad_u64_u32 v[37:38], null, v4, s41, v[5:6]
	v_mul_lo_u32 v5, v7, s27
	v_mul_lo_u32 v6, v63, s25
	v_subrev_nc_u32_e32 v9, s10, v34
	v_mul_lo_u32 v7, v76, s26
	v_lshlrev_b32_e32 v11, 2, v2
	s_lshl_b32 s18, s48, 2
	v_subrev_nc_u32_e32 v10, s29, v37
	v_mad_u64_u32 v[3:4], null, v9, s26, v[1:2]
	v_add_lshl_u32 v2, v2, s8, 2
	v_cmp_gt_i32_e64 s3, s47, v32
	s_delay_alu instid0(VALU_DEP_4)
	v_mul_lo_u32 v1, v10, s25
	v_add_nc_u32_e32 v32, s8, v32
	s_sub_i32 s11, s31, s11
	buffer_load_b128 v[58:61], v2, s[4:7], 0 offen
	v_add3_u32 v2, v6, v5, v7
	v_mov_b32_e32 v7, 0
	v_dual_mov_b32 v5, 0 :: v_dual_lshlrev_b32 v6, 6, v64
	v_add3_u32 v1, v3, v8, v1
	v_mov_b32_e32 v8, 0
	buffer_load_b128 v[54:57], v11, s[4:7], 0 offen
	v_cmp_le_i32_e64 s4, s10, v34
	v_cmp_gt_i32_e64 s5, s11, v34
	v_lshlrev_b32_e32 v3, 2, v1
	v_add_lshl_u32 v1, v2, v1, 2
	s_clause 0x1
	buffer_load_b128 v[68:71], v3, s[16:19], 0 offen
	buffer_load_b128 v[72:75], v1, s[16:19], 0 offen
	s_clause 0x1
	s_load_b32 s9, s[0:1], 0xe4
	s_load_b32 s2, s[0:1], 0xf0
	v_dual_mov_b32 v47, 0 :: v_dual_lshlrev_b32 v2, 1, v0
	v_mov_b32_e32 v43, 0
	v_dual_mov_b32 v3, 0 :: v_dual_add_nc_u32 v34, v34, v76
	s_delay_alu instid0(VALU_DEP_3)
	v_and_b32_e32 v4, 0x1f8, v2
	v_and_b32_e32 v2, 0x1fc, v2
	v_cmp_gt_i32_e64 s6, s47, v32
	v_add_nc_u32_e32 v32, v37, v63
	s_sub_i32 s16, s28, s30
	v_dual_mov_b32 v35, 0 :: v_dual_lshlrev_b32 v0, 2, v0
	v_sub_nc_u32_e32 v2, v2, v4
	v_sub_nc_u32_e32 v66, v4, v6
	s_and_b32 s17, s4, s5
	v_cmp_le_i32_e64 s4, s10, v34
	v_cmp_gt_i32_e64 s5, s11, v34
	v_cmp_gt_i32_e64 s10, s16, v37
	s_waitcnt lgkmcnt(0)
	v_cmp_gt_i32_e64 s8, s9, v62
	v_cmp_gt_i32_e32 vcc_lo, s2, v40
	v_cmp_le_i32_e64 s9, s29, v37
	v_cmp_gt_i32_e64 s2, s2, v51
	v_cmp_gt_i32_e64 s7, s46, v77
	;; [unrolled: 1-line block ×3, first 2 shown]
	s_and_b32 s17, vcc_lo, s17
	v_cmp_le_i32_e32 vcc_lo, s29, v32
	v_lshlrev_b32_e32 v52, 2, v52
	v_lshl_add_u32 v65, v64, 3, v2
	v_and_or_b32 v64, v0, 4, v66
	s_and_b32 s4, s4, s5
	s_and_b32 s5, s9, s10
	;; [unrolled: 1-line block ×4, first 2 shown]
	s_and_b32 s5, vcc_lo, s11
	s_and_b32 vcc_lo, s3, s7
	v_lshl_or_b32 v39, v39, 9, v52
	v_lshlrev_b32_e32 v67, 2, v64
	s_and_b32 s2, s2, s5
	v_dual_mov_b32 v13, 0 :: v_dual_lshlrev_b32 v66, 2, v65
	v_dual_mov_b32 v1, 0 :: v_dual_mov_b32 v38, 0
	v_dual_mov_b32 v33, 0 :: v_dual_mov_b32 v10, 0
	v_mov_b32_e32 v9, 0
	v_dual_mov_b32 v11, 0 :: v_dual_mov_b32 v2, 0
	v_mov_b32_e32 v6, 0
	v_mov_b32_e32 v4, 0
	v_mov_b32_e32 v0, 0
	v_dual_mov_b32 v62, 0 :: v_dual_add_nc_u32 v65, s23, v65
	s_lshl_b32 s22, s22, 2
	s_mov_b32 s23, s19
	v_mov_b32_e32 v63, 0
	s_delay_alu instid0(VALU_DEP_2)
	v_or_b32_e32 v131, 1, v65
	s_waitcnt vmcnt(2)
	v_cndmask_b32_e32 v32, 0, v57, vcc_lo
	v_dual_cndmask_b32 v34, 0, v56 :: v_dual_cndmask_b32 v37, 0, v55
	v_cndmask_b32_e32 v40, 0, v54, vcc_lo
	s_and_b32 vcc_lo, s6, s7
	v_dual_cndmask_b32 v55, 0, v60 :: v_dual_cndmask_b32 v52, 0, v59
	v_dual_cndmask_b32 v54, 0, v58 :: v_dual_cndmask_b32 v51, 0, v61
	s_and_b32 vcc_lo, s8, s4
	ds_store_2addr_stride64_b32 v39, v40, v37 offset0:64 offset1:66
	ds_store_2addr_stride64_b32 v39, v34, v32 offset0:68 offset1:70
	;; [unrolled: 1-line block ×3, first 2 shown]
	s_waitcnt vmcnt(1)
	v_cndmask_b32_e32 v32, 0, v71, vcc_lo
	v_dual_cndmask_b32 v34, 0, v70 :: v_dual_mov_b32 v61, 0
	v_dual_cndmask_b32 v37, 0, v69 :: v_dual_cndmask_b32 v40, 0, v68
	v_mov_b32_e32 v59, 0
	s_and_b32 vcc_lo, s8, s2
	v_mov_b32_e32 v60, 0
	s_waitcnt vmcnt(0)
	v_cndmask_b32_e32 v54, 0, v73, vcc_lo
	v_cndmask_b32_e32 v56, 0, v72, vcc_lo
	v_dual_cndmask_b32 v52, 0, v75 :: v_dual_cndmask_b32 v57, 0, v74
	ds_store_2addr_stride64_b32 v39, v55, v51 offset0:76 offset1:78
	ds_store_2addr_stride64_b32 v39, v40, v37 offset1:2
	ds_store_2addr_stride64_b32 v39, v34, v32 offset0:4 offset1:6
	ds_store_2addr_stride64_b32 v39, v56, v54 offset0:8 offset1:10
	;; [unrolled: 1-line block ×3, first 2 shown]
	v_mov_b32_e32 v57, 0
	s_waitcnt lgkmcnt(0)
	s_barrier
	buffer_gl0_inv
	ds_load_b128 v[68:71], v66
	ds_load_b128 v[72:75], v67 offset:16384
	v_dual_mov_b32 v32, 0 :: v_dual_mov_b32 v37, 0
	v_dual_mov_b32 v34, 0 :: v_dual_mov_b32 v39, 0
	v_mov_b32_e32 v58, 0
	v_dual_mov_b32 v56, 0 :: v_dual_mov_b32 v55, 0
	v_dual_mov_b32 v54, 0 :: v_dual_mov_b32 v51, 0
	v_mov_b32_e32 v52, 0
	ds_load_b128 v[76:79], v67 offset:16640
	ds_load_b128 v[80:83], v66 offset:256
	v_mov_b32_e32 v40, 0
	s_waitcnt lgkmcnt(2)
	;;#ASMSTART
	
             v_fmac_f32 v44, v68, v72 
             
	;;#ASMEND
	;;#ASMSTART
	
             v_fmac_f32 v41, v68, v73 
             
	;;#ASMEND
	;; [unrolled: 5-line block ×16, first 2 shown]
	s_waitcnt lgkmcnt(1)
	;;#ASMSTART
	
             v_fmac_f32 v53, v68, v76 
             
	;;#ASMEND
	;;#ASMSTART
	
             v_fmac_f32 v50, v68, v77 
             
	;;#ASMEND
	;; [unrolled: 5-line block ×16, first 2 shown]
	ds_load_b128 v[68:71], v66 offset:512
	s_waitcnt lgkmcnt(1)
	;;#ASMSTART
	
             v_fmac_f32 v24, v80, v72 
             
	;;#ASMEND
	;;#ASMSTART
	
             v_fmac_f32 v26, v80, v73 
             
	;;#ASMEND
	;; [unrolled: 5-line block ×16, first 2 shown]
	ds_load_b128 v[72:75], v67 offset:16896
	;;#ASMSTART
	
             v_fmac_f32 v62, v80, v76 
             
	;;#ASMEND
	;;#ASMSTART
	
             v_fmac_f32 v63, v80, v77 
             
	;;#ASMEND
	;; [unrolled: 5-line block ×16, first 2 shown]
	ds_load_b128 v[76:79], v67 offset:17152
	ds_load_b128 v[80:83], v66 offset:768
	s_waitcnt lgkmcnt(2)
	;;#ASMSTART
	
             v_fmac_f32 v44, v68, v72 
             
	;;#ASMEND
	;;#ASMSTART
	
             v_fmac_f32 v41, v68, v73 
             
	;;#ASMEND
	;; [unrolled: 5-line block ×16, first 2 shown]
	s_waitcnt lgkmcnt(1)
	;;#ASMSTART
	
             v_fmac_f32 v53, v68, v76 
             
	;;#ASMEND
	;;#ASMSTART
	
             v_fmac_f32 v50, v68, v77 
             
	;;#ASMEND
	;; [unrolled: 5-line block ×16, first 2 shown]
	ds_load_b128 v[68:71], v66 offset:1024
	s_waitcnt lgkmcnt(1)
	;;#ASMSTART
	
             v_fmac_f32 v24, v80, v72 
             
	;;#ASMEND
	;;#ASMSTART
	
             v_fmac_f32 v26, v80, v73 
             
	;;#ASMEND
	;; [unrolled: 5-line block ×16, first 2 shown]
	ds_load_b128 v[72:75], v67 offset:17408
	;;#ASMSTART
	
             v_fmac_f32 v62, v80, v76 
             
	;;#ASMEND
	;;#ASMSTART
	
             v_fmac_f32 v63, v80, v77 
             
	;;#ASMEND
	;; [unrolled: 5-line block ×16, first 2 shown]
	ds_load_b128 v[76:79], v67 offset:17664
	ds_load_b128 v[80:83], v66 offset:1280
	s_waitcnt lgkmcnt(2)
	;;#ASMSTART
	
             v_fmac_f32 v44, v68, v72 
             
	;;#ASMEND
	;;#ASMSTART
	
             v_fmac_f32 v41, v68, v73 
             
	;;#ASMEND
	;;#ASMSTART
	
             v_fmac_f32 v42, v68, v74 
             
	;;#ASMEND
	;;#ASMSTART
	
             v_fmac_f32 v38, v68, v75 
             
	;;#ASMEND
	;;#ASMSTART
	
             v_fmac_f32 v28, v69, v72 
             
	;;#ASMEND
	;;#ASMSTART
	
             v_fmac_f32 v33, v69, v73 
             
	;;#ASMEND
	;;#ASMSTART
	
             v_fmac_f32 v29, v69, v74 
             
	;;#ASMEND
	;;#ASMSTART
	
             v_fmac_f32 v27, v69, v75 
             
	;;#ASMEND
	;;#ASMSTART
	
             v_fmac_f32 v19, v70, v72 
             
	;;#ASMEND
	;;#ASMSTART
	
             v_fmac_f32 v21, v70, v73 
             
	;;#ASMEND
	;;#ASMSTART
	
             v_fmac_f32 v23, v70, v74 
             
	;;#ASMEND
	;;#ASMSTART
	
             v_fmac_f32 v18, v70, v75 
             
	;;#ASMEND
	;;#ASMSTART
	
             v_fmac_f32 v10, v71, v72 
             
	;;#ASMEND
	;;#ASMSTART
	
             v_fmac_f32 v8, v71, v73 
             
	;;#ASMEND
	;;#ASMSTART
	
             v_fmac_f32 v9, v71, v74 
             
	;;#ASMEND
	;;#ASMSTART
	
             v_fmac_f32 v7, v71, v75 
             
	;;#ASMEND
	s_waitcnt lgkmcnt(1)
	;;#ASMSTART
	
             v_fmac_f32 v53, v68, v76 
             
	;;#ASMEND
	;;#ASMSTART
	
             v_fmac_f32 v50, v68, v77 
             
	;;#ASMEND
	;; [unrolled: 5-line block ×16, first 2 shown]
	ds_load_b128 v[68:71], v66 offset:1536
	s_waitcnt lgkmcnt(1)
	;;#ASMSTART
	
             v_fmac_f32 v24, v80, v72 
             
	;;#ASMEND
	;;#ASMSTART
	
             v_fmac_f32 v26, v80, v73 
             
	;;#ASMEND
	;; [unrolled: 5-line block ×16, first 2 shown]
	ds_load_b128 v[72:75], v67 offset:17920
	;;#ASMSTART
	
             v_fmac_f32 v62, v80, v76 
             
	;;#ASMEND
	;;#ASMSTART
	
             v_fmac_f32 v63, v80, v77 
             
	;;#ASMEND
	;; [unrolled: 5-line block ×16, first 2 shown]
	ds_load_b128 v[76:79], v67 offset:18176
	ds_load_b128 v[80:83], v66 offset:1792
	s_waitcnt lgkmcnt(2)
	;;#ASMSTART
	
             v_fmac_f32 v44, v68, v72 
             
	;;#ASMEND
	;;#ASMSTART
	
             v_fmac_f32 v41, v68, v73 
             
	;;#ASMEND
	;; [unrolled: 5-line block ×16, first 2 shown]
	s_waitcnt lgkmcnt(1)
	;;#ASMSTART
	
             v_fmac_f32 v53, v68, v76 
             
	;;#ASMEND
	;;#ASMSTART
	
             v_fmac_f32 v50, v68, v77 
             
	;;#ASMEND
	;; [unrolled: 5-line block ×16, first 2 shown]
	ds_load_b128 v[68:71], v66 offset:2048
	s_waitcnt lgkmcnt(1)
	;;#ASMSTART
	
             v_fmac_f32 v24, v80, v72 
             
	;;#ASMEND
	;;#ASMSTART
	
             v_fmac_f32 v26, v80, v73 
             
	;;#ASMEND
	;; [unrolled: 5-line block ×16, first 2 shown]
	ds_load_b128 v[72:75], v67 offset:18432
	;;#ASMSTART
	
             v_fmac_f32 v62, v80, v76 
             
	;;#ASMEND
	;;#ASMSTART
	
             v_fmac_f32 v63, v80, v77 
             
	;;#ASMEND
	;; [unrolled: 5-line block ×16, first 2 shown]
	ds_load_b128 v[76:79], v67 offset:18688
	ds_load_b128 v[80:83], v66 offset:2304
	s_waitcnt lgkmcnt(2)
	;;#ASMSTART
	
             v_fmac_f32 v44, v68, v72 
             
	;;#ASMEND
	;;#ASMSTART
	
             v_fmac_f32 v41, v68, v73 
             
	;;#ASMEND
	;; [unrolled: 5-line block ×16, first 2 shown]
	s_waitcnt lgkmcnt(1)
	;;#ASMSTART
	
             v_fmac_f32 v53, v68, v76 
             
	;;#ASMEND
	;;#ASMSTART
	
             v_fmac_f32 v50, v68, v77 
             
	;;#ASMEND
	;; [unrolled: 5-line block ×16, first 2 shown]
	ds_load_b128 v[68:71], v66 offset:2560
	s_waitcnt lgkmcnt(1)
	;;#ASMSTART
	
             v_fmac_f32 v24, v80, v72 
             
	;;#ASMEND
	;;#ASMSTART
	
             v_fmac_f32 v26, v80, v73 
             
	;;#ASMEND
	;; [unrolled: 5-line block ×16, first 2 shown]
	ds_load_b128 v[72:75], v67 offset:18944
	;;#ASMSTART
	
             v_fmac_f32 v62, v80, v76 
             
	;;#ASMEND
	;;#ASMSTART
	
             v_fmac_f32 v63, v80, v77 
             
	;;#ASMEND
	;; [unrolled: 5-line block ×16, first 2 shown]
	ds_load_b128 v[76:79], v67 offset:19200
	ds_load_b128 v[80:83], v66 offset:2816
	s_waitcnt lgkmcnt(2)
	;;#ASMSTART
	
             v_fmac_f32 v44, v68, v72 
             
	;;#ASMEND
	;;#ASMSTART
	
             v_fmac_f32 v41, v68, v73 
             
	;;#ASMEND
	;; [unrolled: 5-line block ×16, first 2 shown]
	s_waitcnt lgkmcnt(1)
	;;#ASMSTART
	
             v_fmac_f32 v53, v68, v76 
             
	;;#ASMEND
	;;#ASMSTART
	
             v_fmac_f32 v50, v68, v77 
             
	;;#ASMEND
	;; [unrolled: 5-line block ×16, first 2 shown]
	ds_load_b128 v[68:71], v66 offset:3072
	s_waitcnt lgkmcnt(1)
	;;#ASMSTART
	
             v_fmac_f32 v24, v80, v72 
             
	;;#ASMEND
	;;#ASMSTART
	
             v_fmac_f32 v26, v80, v73 
             
	;;#ASMEND
	;; [unrolled: 5-line block ×16, first 2 shown]
	ds_load_b128 v[72:75], v67 offset:19456
	;;#ASMSTART
	
             v_fmac_f32 v62, v80, v76 
             
	;;#ASMEND
	;;#ASMSTART
	
             v_fmac_f32 v63, v80, v77 
             
	;;#ASMEND
	;; [unrolled: 5-line block ×16, first 2 shown]
	ds_load_b128 v[76:79], v67 offset:19712
	ds_load_b128 v[80:83], v66 offset:3328
	s_waitcnt lgkmcnt(2)
	;;#ASMSTART
	
             v_fmac_f32 v44, v68, v72 
             
	;;#ASMEND
	;;#ASMSTART
	
             v_fmac_f32 v41, v68, v73 
             
	;;#ASMEND
	;;#ASMSTART
	
             v_fmac_f32 v42, v68, v74 
             
	;;#ASMEND
	;;#ASMSTART
	
             v_fmac_f32 v38, v68, v75 
             
	;;#ASMEND
	;;#ASMSTART
	
             v_fmac_f32 v28, v69, v72 
             
	;;#ASMEND
	;;#ASMSTART
	
             v_fmac_f32 v33, v69, v73 
             
	;;#ASMEND
	;;#ASMSTART
	
             v_fmac_f32 v29, v69, v74 
             
	;;#ASMEND
	;;#ASMSTART
	
             v_fmac_f32 v27, v69, v75 
             
	;;#ASMEND
	;;#ASMSTART
	
             v_fmac_f32 v19, v70, v72 
             
	;;#ASMEND
	;;#ASMSTART
	
             v_fmac_f32 v21, v70, v73 
             
	;;#ASMEND
	;;#ASMSTART
	
             v_fmac_f32 v23, v70, v74 
             
	;;#ASMEND
	;;#ASMSTART
	
             v_fmac_f32 v18, v70, v75 
             
	;;#ASMEND
	;;#ASMSTART
	
             v_fmac_f32 v10, v71, v72 
             
	;;#ASMEND
	;;#ASMSTART
	
             v_fmac_f32 v8, v71, v73 
             
	;;#ASMEND
	;;#ASMSTART
	
             v_fmac_f32 v9, v71, v74 
             
	;;#ASMEND
	;;#ASMSTART
	
             v_fmac_f32 v7, v71, v75 
             
	;;#ASMEND
	s_waitcnt lgkmcnt(1)
	;;#ASMSTART
	
             v_fmac_f32 v53, v68, v76 
             
	;;#ASMEND
	;;#ASMSTART
	
             v_fmac_f32 v50, v68, v77 
             
	;;#ASMEND
	;; [unrolled: 5-line block ×16, first 2 shown]
	ds_load_b128 v[68:71], v66 offset:3584
	s_waitcnt lgkmcnt(1)
	;;#ASMSTART
	
             v_fmac_f32 v24, v80, v72 
             
	;;#ASMEND
	;;#ASMSTART
	
             v_fmac_f32 v26, v80, v73 
             
	;;#ASMEND
	;; [unrolled: 5-line block ×16, first 2 shown]
	ds_load_b128 v[72:75], v67 offset:19968
	;;#ASMSTART
	
             v_fmac_f32 v62, v80, v76 
             
	;;#ASMEND
	;;#ASMSTART
	
             v_fmac_f32 v63, v80, v77 
             
	;;#ASMEND
	;; [unrolled: 5-line block ×16, first 2 shown]
	ds_load_b128 v[76:79], v67 offset:20224
	ds_load_b128 v[80:83], v66 offset:3840
	s_waitcnt lgkmcnt(2)
	;;#ASMSTART
	
             v_fmac_f32 v44, v68, v72 
             
	;;#ASMEND
	;;#ASMSTART
	
             v_fmac_f32 v41, v68, v73 
             
	;;#ASMEND
	;;#ASMSTART
	
             v_fmac_f32 v42, v68, v74 
             
	;;#ASMEND
	;;#ASMSTART
	
             v_fmac_f32 v38, v68, v75 
             
	;;#ASMEND
	;;#ASMSTART
	
             v_fmac_f32 v28, v69, v72 
             
	;;#ASMEND
	;;#ASMSTART
	
             v_fmac_f32 v33, v69, v73 
             
	;;#ASMEND
	;;#ASMSTART
	
             v_fmac_f32 v29, v69, v74 
             
	;;#ASMEND
	;;#ASMSTART
	
             v_fmac_f32 v27, v69, v75 
             
	;;#ASMEND
	;;#ASMSTART
	
             v_fmac_f32 v19, v70, v72 
             
	;;#ASMEND
	;;#ASMSTART
	
             v_fmac_f32 v21, v70, v73 
             
	;;#ASMEND
	;;#ASMSTART
	
             v_fmac_f32 v23, v70, v74 
             
	;;#ASMEND
	;;#ASMSTART
	
             v_fmac_f32 v18, v70, v75 
             
	;;#ASMEND
	;;#ASMSTART
	
             v_fmac_f32 v10, v71, v72 
             
	;;#ASMEND
	;;#ASMSTART
	
             v_fmac_f32 v8, v71, v73 
             
	;;#ASMEND
	;;#ASMSTART
	
             v_fmac_f32 v9, v71, v74 
             
	;;#ASMEND
	;;#ASMSTART
	
             v_fmac_f32 v7, v71, v75 
             
	;;#ASMEND
	s_waitcnt lgkmcnt(1)
	;;#ASMSTART
	
             v_fmac_f32 v53, v68, v76 
             
	;;#ASMEND
	;;#ASMSTART
	
             v_fmac_f32 v50, v68, v77 
             
	;;#ASMEND
	;; [unrolled: 5-line block ×16, first 2 shown]
	ds_load_b128 v[68:71], v66 offset:4096
	s_waitcnt lgkmcnt(1)
	;;#ASMSTART
	
             v_fmac_f32 v24, v80, v72 
             
	;;#ASMEND
	;;#ASMSTART
	
             v_fmac_f32 v26, v80, v73 
             
	;;#ASMEND
	;; [unrolled: 5-line block ×16, first 2 shown]
	ds_load_b128 v[72:75], v67 offset:20480
	;;#ASMSTART
	
             v_fmac_f32 v62, v80, v76 
             
	;;#ASMEND
	;;#ASMSTART
	
             v_fmac_f32 v63, v80, v77 
             
	;;#ASMEND
	;; [unrolled: 5-line block ×16, first 2 shown]
	ds_load_b128 v[76:79], v67 offset:20736
	ds_load_b128 v[80:83], v66 offset:4352
	s_waitcnt lgkmcnt(2)
	;;#ASMSTART
	
             v_fmac_f32 v44, v68, v72 
             
	;;#ASMEND
	;;#ASMSTART
	
             v_fmac_f32 v41, v68, v73 
             
	;;#ASMEND
	;;#ASMSTART
	
             v_fmac_f32 v42, v68, v74 
             
	;;#ASMEND
	;;#ASMSTART
	
             v_fmac_f32 v38, v68, v75 
             
	;;#ASMEND
	;;#ASMSTART
	
             v_fmac_f32 v28, v69, v72 
             
	;;#ASMEND
	;;#ASMSTART
	
             v_fmac_f32 v33, v69, v73 
             
	;;#ASMEND
	;;#ASMSTART
	
             v_fmac_f32 v29, v69, v74 
             
	;;#ASMEND
	;;#ASMSTART
	
             v_fmac_f32 v27, v69, v75 
             
	;;#ASMEND
	;;#ASMSTART
	
             v_fmac_f32 v19, v70, v72 
             
	;;#ASMEND
	;;#ASMSTART
	
             v_fmac_f32 v21, v70, v73 
             
	;;#ASMEND
	;;#ASMSTART
	
             v_fmac_f32 v23, v70, v74 
             
	;;#ASMEND
	;;#ASMSTART
	
             v_fmac_f32 v18, v70, v75 
             
	;;#ASMEND
	;;#ASMSTART
	
             v_fmac_f32 v10, v71, v72 
             
	;;#ASMEND
	;;#ASMSTART
	
             v_fmac_f32 v8, v71, v73 
             
	;;#ASMEND
	;;#ASMSTART
	
             v_fmac_f32 v9, v71, v74 
             
	;;#ASMEND
	;;#ASMSTART
	
             v_fmac_f32 v7, v71, v75 
             
	;;#ASMEND
	s_waitcnt lgkmcnt(1)
	;;#ASMSTART
	
             v_fmac_f32 v53, v68, v76 
             
	;;#ASMEND
	;;#ASMSTART
	
             v_fmac_f32 v50, v68, v77 
             
	;;#ASMEND
	;; [unrolled: 5-line block ×16, first 2 shown]
	ds_load_b128 v[68:71], v66 offset:4608
	s_waitcnt lgkmcnt(1)
	;;#ASMSTART
	
             v_fmac_f32 v24, v80, v72 
             
	;;#ASMEND
	;;#ASMSTART
	
             v_fmac_f32 v26, v80, v73 
             
	;;#ASMEND
	;; [unrolled: 5-line block ×16, first 2 shown]
	ds_load_b128 v[72:75], v67 offset:20992
	;;#ASMSTART
	
             v_fmac_f32 v62, v80, v76 
             
	;;#ASMEND
	;;#ASMSTART
	
             v_fmac_f32 v63, v80, v77 
             
	;;#ASMEND
	;; [unrolled: 5-line block ×16, first 2 shown]
	ds_load_b128 v[76:79], v67 offset:21248
	ds_load_b128 v[80:83], v66 offset:4864
	s_waitcnt lgkmcnt(2)
	;;#ASMSTART
	
             v_fmac_f32 v44, v68, v72 
             
	;;#ASMEND
	;;#ASMSTART
	
             v_fmac_f32 v41, v68, v73 
             
	;;#ASMEND
	;; [unrolled: 5-line block ×16, first 2 shown]
	s_waitcnt lgkmcnt(1)
	;;#ASMSTART
	
             v_fmac_f32 v53, v68, v76 
             
	;;#ASMEND
	;;#ASMSTART
	
             v_fmac_f32 v50, v68, v77 
             
	;;#ASMEND
	;; [unrolled: 5-line block ×16, first 2 shown]
	ds_load_b128 v[68:71], v66 offset:5120
	s_waitcnt lgkmcnt(1)
	;;#ASMSTART
	
             v_fmac_f32 v24, v80, v72 
             
	;;#ASMEND
	;;#ASMSTART
	
             v_fmac_f32 v26, v80, v73 
             
	;;#ASMEND
	;; [unrolled: 5-line block ×16, first 2 shown]
	ds_load_b128 v[72:75], v67 offset:21504
	;;#ASMSTART
	
             v_fmac_f32 v62, v80, v76 
             
	;;#ASMEND
	;;#ASMSTART
	
             v_fmac_f32 v63, v80, v77 
             
	;;#ASMEND
	;;#ASMSTART
	
             v_fmac_f32 v60, v80, v78 
             
	;;#ASMEND
	;;#ASMSTART
	
             v_fmac_f32 v61, v80, v79 
             
	;;#ASMEND
	;;#ASMSTART
	
             v_fmac_f32 v58, v81, v76 
             
	;;#ASMEND
	;;#ASMSTART
	
             v_fmac_f32 v59, v81, v77 
             
	;;#ASMEND
	;;#ASMSTART
	
             v_fmac_f32 v56, v81, v78 
             
	;;#ASMEND
	;;#ASMSTART
	
             v_fmac_f32 v57, v81, v79 
             
	;;#ASMEND
	;;#ASMSTART
	
             v_fmac_f32 v55, v82, v76 
             
	;;#ASMEND
	;;#ASMSTART
	
             v_fmac_f32 v54, v82, v77 
             
	;;#ASMEND
	;;#ASMSTART
	
             v_fmac_f32 v51, v82, v78 
             
	;;#ASMEND
	;;#ASMSTART
	
             v_fmac_f32 v52, v82, v79 
             
	;;#ASMEND
	;;#ASMSTART
	
             v_fmac_f32 v37, v83, v76 
             
	;;#ASMEND
	;;#ASMSTART
	
             v_fmac_f32 v39, v83, v77 
             
	;;#ASMEND
	;;#ASMSTART
	
             v_fmac_f32 v40, v83, v78 
             
	;;#ASMEND
	;;#ASMSTART
	
             v_fmac_f32 v1, v83, v79 
             
	;;#ASMEND
	ds_load_b128 v[76:79], v67 offset:21760
	ds_load_b128 v[80:83], v66 offset:5376
	s_waitcnt lgkmcnt(2)
	;;#ASMSTART
	
             v_fmac_f32 v44, v68, v72 
             
	;;#ASMEND
	;;#ASMSTART
	
             v_fmac_f32 v41, v68, v73 
             
	;;#ASMEND
	;; [unrolled: 5-line block ×16, first 2 shown]
	s_waitcnt lgkmcnt(1)
	;;#ASMSTART
	
             v_fmac_f32 v53, v68, v76 
             
	;;#ASMEND
	;;#ASMSTART
	
             v_fmac_f32 v50, v68, v77 
             
	;;#ASMEND
	;; [unrolled: 5-line block ×16, first 2 shown]
	ds_load_b128 v[68:71], v66 offset:5632
	s_waitcnt lgkmcnt(1)
	;;#ASMSTART
	
             v_fmac_f32 v24, v80, v72 
             
	;;#ASMEND
	;;#ASMSTART
	
             v_fmac_f32 v26, v80, v73 
             
	;;#ASMEND
	;;#ASMSTART
	
             v_fmac_f32 v22, v80, v74 
             
	;;#ASMEND
	;;#ASMSTART
	
             v_fmac_f32 v17, v80, v75 
             
	;;#ASMEND
	;;#ASMSTART
	
             v_fmac_f32 v11, v81, v72 
             
	;;#ASMEND
	;;#ASMSTART
	
             v_fmac_f32 v13, v81, v73 
             
	;;#ASMEND
	;;#ASMSTART
	
             v_fmac_f32 v14, v81, v74 
             
	;;#ASMEND
	;;#ASMSTART
	
             v_fmac_f32 v12, v81, v75 
             
	;;#ASMEND
	;;#ASMSTART
	
             v_fmac_f32 v5, v82, v72 
             
	;;#ASMEND
	;;#ASMSTART
	
             v_fmac_f32 v3, v82, v73 
             
	;;#ASMEND
	;;#ASMSTART
	
             v_fmac_f32 v6, v82, v74 
             
	;;#ASMEND
	;;#ASMSTART
	
             v_fmac_f32 v4, v82, v75 
             
	;;#ASMEND
	;;#ASMSTART
	
             v_fmac_f32 v0, v83, v72 
             
	;;#ASMEND
	;;#ASMSTART
	
             v_fmac_f32 v2, v83, v73 
             
	;;#ASMEND
	;;#ASMSTART
	
             v_fmac_f32 v32, v83, v74 
             
	;;#ASMEND
	;;#ASMSTART
	
             v_fmac_f32 v34, v83, v75 
             
	;;#ASMEND
	ds_load_b128 v[72:75], v67 offset:22016
	;;#ASMSTART
	
             v_fmac_f32 v62, v80, v76 
             
	;;#ASMEND
	;;#ASMSTART
	
             v_fmac_f32 v63, v80, v77 
             
	;;#ASMEND
	;; [unrolled: 5-line block ×16, first 2 shown]
	ds_load_b128 v[76:79], v67 offset:22272
	ds_load_b128 v[80:83], v66 offset:5888
	s_waitcnt lgkmcnt(2)
	;;#ASMSTART
	
             v_fmac_f32 v44, v68, v72 
             
	;;#ASMEND
	;;#ASMSTART
	
             v_fmac_f32 v41, v68, v73 
             
	;;#ASMEND
	;;#ASMSTART
	
             v_fmac_f32 v42, v68, v74 
             
	;;#ASMEND
	;;#ASMSTART
	
             v_fmac_f32 v38, v68, v75 
             
	;;#ASMEND
	;;#ASMSTART
	
             v_fmac_f32 v28, v69, v72 
             
	;;#ASMEND
	;;#ASMSTART
	
             v_fmac_f32 v33, v69, v73 
             
	;;#ASMEND
	;;#ASMSTART
	
             v_fmac_f32 v29, v69, v74 
             
	;;#ASMEND
	;;#ASMSTART
	
             v_fmac_f32 v27, v69, v75 
             
	;;#ASMEND
	;;#ASMSTART
	
             v_fmac_f32 v19, v70, v72 
             
	;;#ASMEND
	;;#ASMSTART
	
             v_fmac_f32 v21, v70, v73 
             
	;;#ASMEND
	;;#ASMSTART
	
             v_fmac_f32 v23, v70, v74 
             
	;;#ASMEND
	;;#ASMSTART
	
             v_fmac_f32 v18, v70, v75 
             
	;;#ASMEND
	;;#ASMSTART
	
             v_fmac_f32 v10, v71, v72 
             
	;;#ASMEND
	;;#ASMSTART
	
             v_fmac_f32 v8, v71, v73 
             
	;;#ASMEND
	;;#ASMSTART
	
             v_fmac_f32 v9, v71, v74 
             
	;;#ASMEND
	;;#ASMSTART
	
             v_fmac_f32 v7, v71, v75 
             
	;;#ASMEND
	s_waitcnt lgkmcnt(1)
	;;#ASMSTART
	
             v_fmac_f32 v53, v68, v76 
             
	;;#ASMEND
	;;#ASMSTART
	
             v_fmac_f32 v50, v68, v77 
             
	;;#ASMEND
	;; [unrolled: 5-line block ×16, first 2 shown]
	ds_load_b128 v[68:71], v66 offset:6144
	s_waitcnt lgkmcnt(1)
	;;#ASMSTART
	
             v_fmac_f32 v24, v80, v72 
             
	;;#ASMEND
	;;#ASMSTART
	
             v_fmac_f32 v26, v80, v73 
             
	;;#ASMEND
	;; [unrolled: 5-line block ×16, first 2 shown]
	ds_load_b128 v[72:75], v67 offset:22528
	;;#ASMSTART
	
             v_fmac_f32 v62, v80, v76 
             
	;;#ASMEND
	;;#ASMSTART
	
             v_fmac_f32 v63, v80, v77 
             
	;;#ASMEND
	;; [unrolled: 5-line block ×16, first 2 shown]
	ds_load_b128 v[76:79], v67 offset:22784
	ds_load_b128 v[80:83], v66 offset:6400
	s_waitcnt lgkmcnt(2)
	;;#ASMSTART
	
             v_fmac_f32 v44, v68, v72 
             
	;;#ASMEND
	;;#ASMSTART
	
             v_fmac_f32 v41, v68, v73 
             
	;;#ASMEND
	;; [unrolled: 5-line block ×16, first 2 shown]
	s_waitcnt lgkmcnt(1)
	;;#ASMSTART
	
             v_fmac_f32 v53, v68, v76 
             
	;;#ASMEND
	;;#ASMSTART
	
             v_fmac_f32 v50, v68, v77 
             
	;;#ASMEND
	;; [unrolled: 5-line block ×16, first 2 shown]
	ds_load_b128 v[68:71], v66 offset:6656
	s_waitcnt lgkmcnt(1)
	;;#ASMSTART
	
             v_fmac_f32 v24, v80, v72 
             
	;;#ASMEND
	;;#ASMSTART
	
             v_fmac_f32 v26, v80, v73 
             
	;;#ASMEND
	;; [unrolled: 5-line block ×16, first 2 shown]
	ds_load_b128 v[72:75], v67 offset:23040
	;;#ASMSTART
	
             v_fmac_f32 v62, v80, v76 
             
	;;#ASMEND
	;;#ASMSTART
	
             v_fmac_f32 v63, v80, v77 
             
	;;#ASMEND
	;; [unrolled: 5-line block ×16, first 2 shown]
	ds_load_b128 v[76:79], v67 offset:23296
	ds_load_b128 v[80:83], v66 offset:6912
	s_waitcnt lgkmcnt(2)
	;;#ASMSTART
	
             v_fmac_f32 v44, v68, v72 
             
	;;#ASMEND
	;;#ASMSTART
	
             v_fmac_f32 v41, v68, v73 
             
	;;#ASMEND
	;; [unrolled: 5-line block ×16, first 2 shown]
	s_waitcnt lgkmcnt(1)
	;;#ASMSTART
	
             v_fmac_f32 v53, v68, v76 
             
	;;#ASMEND
	;;#ASMSTART
	
             v_fmac_f32 v50, v68, v77 
             
	;;#ASMEND
	;; [unrolled: 5-line block ×16, first 2 shown]
	ds_load_b128 v[68:71], v66 offset:7168
	s_waitcnt lgkmcnt(1)
	;;#ASMSTART
	
             v_fmac_f32 v24, v80, v72 
             
	;;#ASMEND
	;;#ASMSTART
	
             v_fmac_f32 v26, v80, v73 
             
	;;#ASMEND
	;; [unrolled: 5-line block ×16, first 2 shown]
	ds_load_b128 v[72:75], v67 offset:23552
	;;#ASMSTART
	
             v_fmac_f32 v62, v80, v76 
             
	;;#ASMEND
	;;#ASMSTART
	
             v_fmac_f32 v63, v80, v77 
             
	;;#ASMEND
	;; [unrolled: 5-line block ×16, first 2 shown]
	ds_load_b128 v[76:79], v67 offset:23808
	ds_load_b128 v[80:83], v66 offset:7424
	s_waitcnt lgkmcnt(2)
	;;#ASMSTART
	
             v_fmac_f32 v44, v68, v72 
             
	;;#ASMEND
	;;#ASMSTART
	
             v_fmac_f32 v41, v68, v73 
             
	;;#ASMEND
	;; [unrolled: 5-line block ×16, first 2 shown]
	s_waitcnt lgkmcnt(1)
	;;#ASMSTART
	
             v_fmac_f32 v53, v68, v76 
             
	;;#ASMEND
	;;#ASMSTART
	
             v_fmac_f32 v50, v68, v77 
             
	;;#ASMEND
	;; [unrolled: 5-line block ×16, first 2 shown]
	ds_load_b128 v[68:71], v66 offset:7680
	s_waitcnt lgkmcnt(1)
	;;#ASMSTART
	
             v_fmac_f32 v24, v80, v72 
             
	;;#ASMEND
	;;#ASMSTART
	
             v_fmac_f32 v26, v80, v73 
             
	;;#ASMEND
	;; [unrolled: 5-line block ×16, first 2 shown]
	ds_load_b128 v[72:75], v67 offset:24064
	;;#ASMSTART
	
             v_fmac_f32 v62, v80, v76 
             
	;;#ASMEND
	;;#ASMSTART
	
             v_fmac_f32 v63, v80, v77 
             
	;;#ASMEND
	;; [unrolled: 5-line block ×16, first 2 shown]
	ds_load_b128 v[76:79], v67 offset:24320
	ds_load_b128 v[80:83], v66 offset:7936
	v_mul_lo_u32 v66, v65, s34
	s_waitcnt lgkmcnt(2)
	;;#ASMSTART
	
             v_fmac_f32 v44, v68, v72 
             
	;;#ASMEND
	;;#ASMSTART
	
             v_fmac_f32 v41, v68, v73 
             
	;;#ASMEND
	;; [unrolled: 5-line block ×6, first 2 shown]
	v_add_nc_u32_e32 v64, s15, v64
	;;#ASMSTART
	
             v_fmac_f32 v29, v69, v74 
             
	;;#ASMEND
	;;#ASMSTART
	
             v_fmac_f32 v27, v69, v75 
             
	;;#ASMEND
	;; [unrolled: 5-line block ×10, first 2 shown]
	s_waitcnt lgkmcnt(1)
	;;#ASMSTART
	
             v_fmac_f32 v53, v68, v76 
             
	;;#ASMEND
	;;#ASMSTART
	
             v_fmac_f32 v50, v68, v77 
             
	;;#ASMEND
	;; [unrolled: 5-line block ×16, first 2 shown]
	s_waitcnt lgkmcnt(0)
	;;#ASMSTART
	
             v_fmac_f32 v24, v80, v72 
             
	;;#ASMEND
	;;#ASMSTART
	
             v_fmac_f32 v26, v80, v73 
             
	;;#ASMEND
	;; [unrolled: 5-line block ×16, first 2 shown]
	v_mad_u64_u32 v[74:75], null, v64, s35, v[66:67]
	;;#ASMSTART
	
             v_fmac_f32 v62, v80, v76 
             
	;;#ASMEND
	;;#ASMSTART
	
             v_fmac_f32 v63, v80, v77 
             
	;;#ASMEND
	;; [unrolled: 5-line block ×6, first 2 shown]
	s_delay_alu instid0(VALU_DEP_1)
	v_lshlrev_b32_e32 v66, 2, v74
	;;#ASMSTART
	
             v_fmac_f32 v56, v81, v78 
             
	;;#ASMEND
	;;#ASMSTART
	
             v_fmac_f32 v57, v81, v79 
             
	;;#ASMEND
	;; [unrolled: 5-line block ×10, first 2 shown]
	buffer_load_b128 v[66:69], v66, s[20:23], 0 offen
	s_lshl_b32 s2, s35, 6
	v_add_nc_u32_e32 v82, s34, v74
	v_add_lshl_u32 v70, v74, s2, 2
	v_cmp_gt_i32_e32 vcc_lo, s33, v64
	v_add_nc_u32_e32 v130, 64, v64
	s_mov_b32 s15, s19
	v_lshlrev_b32_e32 v74, 2, v82
	buffer_load_b128 v[70:73], v70, s[20:23], 0 offen
	v_add_lshl_u32 v78, v82, s2, 2
	s_clause 0x1
	buffer_load_b128 v[74:77], v74, s[20:23], 0 offen
	buffer_load_b128 v[78:81], v78, s[20:23], 0 offen
	v_add_nc_u32_e32 v86, s34, v82
	s_delay_alu instid0(VALU_DEP_1)
	v_lshlrev_b32_e32 v82, 2, v86
	v_add_lshl_u32 v87, v86, s2, 2
	v_add_nc_u32_e32 v98, s34, v86
	s_clause 0x1
	buffer_load_b128 v[82:85], v82, s[20:23], 0 offen
	buffer_load_b128 v[86:89], v87, s[20:23], 0 offen
	v_lshlrev_b32_e32 v90, 2, v98
	v_add_lshl_u32 v94, v98, s2, 2
	v_mad_u64_u32 v[106:107], null, s34, 61, v[98:99]
	s_clause 0x1
	buffer_load_b128 v[90:93], v90, s[20:23], 0 offen
	buffer_load_b128 v[94:97], v94, s[20:23], 0 offen
	v_lshlrev_b32_e32 v98, 2, v106
	v_add_lshl_u32 v102, v106, s2, 2
	v_add_nc_u32_e32 v110, s34, v106
	s_clause 0x1
	buffer_load_b128 v[98:101], v98, s[20:23], 0 offen
	buffer_load_b128 v[102:105], v102, s[20:23], 0 offen
	v_lshlrev_b32_e32 v106, 2, v110
	v_add_lshl_u32 v111, v110, s2, 2
	v_add_nc_u32_e32 v122, s34, v110
	s_clause 0x1
	buffer_load_b128 v[106:109], v106, s[20:23], 0 offen
	buffer_load_b128 v[110:113], v111, s[20:23], 0 offen
	v_lshlrev_b32_e32 v114, 2, v122
	v_add_nc_u32_e32 v126, s34, v122
	v_add_lshl_u32 v118, v122, s2, 2
	buffer_load_b128 v[114:117], v114, s[20:23], 0 offen
	v_lshlrev_b32_e32 v122, 2, v126
	buffer_load_b128 v[118:121], v118, s[20:23], 0 offen
	v_add_lshl_u32 v126, v126, s2, 2
	v_cmp_gt_i32_e64 s2, s14, v65
	s_clause 0x1
	buffer_load_b128 v[122:125], v122, s[20:23], 0 offen
	buffer_load_b128 v[126:129], v126, s[20:23], 0 offen
	s_and_b32 s3, s2, vcc_lo
	s_clause 0x3
	s_load_b64 s[4:5], s[0:1], 0x1e8
	s_load_b32 s6, s[0:1], 0x1f4
	s_load_b32 s8, s[0:1], 0x200
	;; [unrolled: 1-line block ×3, first 2 shown]
	v_cmp_gt_i32_e64 s1, s14, v131
	s_waitcnt vmcnt(15)
	v_cndmask_b32_e64 v69, 0, v69, s3
	v_cndmask_b32_e64 v66, 0, v66, s3
	;; [unrolled: 1-line block ×4, first 2 shown]
	v_cmp_gt_i32_e64 s3, s33, v130
	v_add_f32_e32 v38, v38, v69
	v_add_f32_e32 v44, v44, v66
	s_delay_alu instid0(VALU_DEP_4) | instskip(NEXT) | instid1(VALU_DEP_4)
	v_dual_add_f32 v42, v42, v68 :: v_dual_add_f32 v41, v41, v67
	s_and_b32 s0, s2, s3
	s_delay_alu instid0(VALU_DEP_3) | instskip(SKIP_4) | instid1(VALU_DEP_3)
	v_max_f32_e32 v69, 0, v38
	s_waitcnt vmcnt(14)
	v_cndmask_b32_e64 v70, 0, v70, s0
	v_dual_max_f32 v68, 0, v42 :: v_dual_max_f32 v67, 0, v41
	v_cndmask_b32_e64 v42, 0, v71, s0
	v_dual_max_f32 v66, 0, v44 :: v_dual_add_f32 v41, v53, v70
	v_cndmask_b32_e64 v44, 0, v73, s0
	v_cndmask_b32_e64 v38, 0, v72, s0
	s_and_b32 s0, s1, vcc_lo
	s_waitcnt lgkmcnt(0)
	v_cmp_gt_i32_e64 s2, s6, v131
	s_waitcnt vmcnt(13)
	v_cndmask_b32_e64 v53, 0, v75, s0
	v_dual_max_f32 v70, 0, v41 :: v_dual_add_f32 v41, v50, v42
	v_cndmask_b32_e64 v50, 0, v74, s0
	v_cndmask_b32_e64 v42, 0, v77, s0
	s_delay_alu instid0(VALU_DEP_4)
	v_add_f32_e32 v33, v33, v53
	v_or_b32_e32 v53, 2, v65
	v_dual_max_f32 v71, 0, v41 :: v_dual_add_f32 v38, v48, v38
	v_dual_add_f32 v41, v49, v44 :: v_dual_add_f32 v28, v28, v50
	v_cndmask_b32_e64 v44, 0, v76, s0
	s_and_b32 s0, s1, s3
	v_add_f32_e32 v27, v27, v42
	v_cmp_gt_i32_e64 s1, s14, v53
	v_max_f32_e32 v72, 0, v38
	v_dual_max_f32 v74, 0, v28 :: v_dual_max_f32 v75, 0, v33
	v_add_f32_e32 v28, v29, v44
	s_waitcnt vmcnt(12)
	v_cndmask_b32_e64 v33, 0, v78, s0
	v_cndmask_b32_e64 v38, 0, v79, s0
	;; [unrolled: 1-line block ×3, first 2 shown]
	v_max_f32_e32 v77, 0, v27
	v_cndmask_b32_e64 v27, 0, v80, s0
	s_and_b32 s0, s1, vcc_lo
	v_max_f32_e32 v76, 0, v28
	v_dual_add_f32 v28, v46, v33 :: v_dual_add_f32 v33, v47, v38
	s_waitcnt vmcnt(11)
	v_cndmask_b32_e64 v38, 0, v83, s0
	v_cndmask_b32_e64 v44, 0, v84, s0
	v_max_f32_e32 v73, 0, v41
	v_max_f32_e32 v41, 0, v28
	v_cndmask_b32_e64 v28, 0, v85, s0
	v_add_f32_e32 v21, v21, v38
	v_dual_add_f32 v23, v23, v44 :: v_dual_max_f32 v42, 0, v33
	v_cndmask_b32_e64 v33, 0, v82, s0
	v_or_b32_e32 v38, 3, v65
	s_and_b32 s0, s1, s3
	s_delay_alu instid0(VALU_DEP_3)
	v_dual_max_f32 v46, 0, v21 :: v_dual_max_f32 v47, 0, v23
	v_add_f32_e32 v18, v18, v28
	s_waitcnt vmcnt(10)
	v_cndmask_b32_e64 v21, 0, v86, s0
	v_cndmask_b32_e64 v23, 0, v87, s0
	v_add_f32_e32 v19, v19, v33
	v_cmp_gt_i32_e64 s1, s14, v38
	v_add_f32_e32 v27, v43, v27
	v_dual_add_f32 v29, v45, v29 :: v_dual_max_f32 v48, 0, v18
	v_cndmask_b32_e64 v18, 0, v88, s0
	v_add_f32_e32 v21, v35, v21
	v_add_f32_e32 v23, v36, v23
	v_max_f32_e32 v45, 0, v19
	v_cndmask_b32_e64 v19, 0, v89, s0
	s_and_b32 s0, s1, vcc_lo
	v_dual_max_f32 v43, 0, v27 :: v_dual_max_f32 v44, 0, v29
	s_waitcnt vmcnt(9)
	v_cndmask_b32_e64 v29, 0, v90, s0
	v_dual_max_f32 v27, 0, v21 :: v_dual_max_f32 v28, 0, v23
	v_add_f32_e32 v18, v30, v18
	v_cndmask_b32_e64 v21, 0, v91, s0
	v_cndmask_b32_e64 v23, 0, v92, s0
	;; [unrolled: 1-line block ×3, first 2 shown]
	s_and_b32 s0, s1, s3
	v_add_nc_u32_e32 v82, 64, v65
	v_dual_add_f32 v10, v10, v29 :: v_dual_max_f32 v29, 0, v18
	v_dual_add_f32 v8, v8, v21 :: v_dual_add_f32 v9, v9, v23
	s_waitcnt vmcnt(8)
	v_cndmask_b32_e64 v18, 0, v94, s0
	v_cmp_gt_i32_e64 s1, s14, v82
	v_add_f32_e32 v7, v7, v33
	v_dual_max_f32 v79, 0, v8 :: v_dual_max_f32 v80, 0, v9
	s_delay_alu instid0(VALU_DEP_4)
	v_add_f32_e32 v8, v25, v18
	v_cndmask_b32_e64 v9, 0, v95, s0
	v_max_f32_e32 v78, 0, v10
	v_cndmask_b32_e64 v10, 0, v97, s0
	v_cndmask_b32_e64 v18, 0, v96, s0
	s_and_b32 s0, s1, vcc_lo
	v_max_f32_e32 v81, 0, v7
	v_dual_max_f32 v7, 0, v8 :: v_dual_add_f32 v8, v20, v9
	s_waitcnt vmcnt(7)
	v_cndmask_b32_e64 v9, 0, v98, s0
	v_cndmask_b32_e64 v20, 0, v99, s0
	v_add_f32_e32 v19, v31, v19
	v_add_f32_e32 v15, v15, v18
	;; [unrolled: 1-line block ×5, first 2 shown]
	v_cndmask_b32_e64 v20, 0, v100, s0
	v_max_f32_e32 v30, 0, v19
	v_cndmask_b32_e64 v19, 0, v101, s0
	s_and_b32 s0, s1, s3
	v_add_nc_u32_e32 v83, 0x41, v65
	v_max_f32_e32 v9, 0, v15
	v_dual_max_f32 v15, 0, v16 :: v_dual_max_f32 v16, 0, v18
	v_add_f32_e32 v18, v22, v20
	s_waitcnt vmcnt(6)
	v_cndmask_b32_e64 v20, 0, v102, s0
	v_cndmask_b32_e64 v22, 0, v103, s0
	v_cmp_gt_i32_e64 s1, s14, v83
	v_cndmask_b32_e64 v21, 0, v105, s0
	s_delay_alu instid0(VALU_DEP_4) | instskip(NEXT) | instid1(VALU_DEP_4)
	v_dual_add_f32 v19, v17, v19 :: v_dual_add_f32 v20, v62, v20
	v_add_f32_e32 v22, v63, v22
	v_cndmask_b32_e64 v23, 0, v104, s0
	s_and_b32 s0, s1, vcc_lo
	v_add_f32_e32 v31, v61, v21
	s_waitcnt vmcnt(5)
	v_cndmask_b32_e64 v25, 0, v108, s0
	v_add_nc_u32_e32 v61, 0x43, v65
	v_dual_max_f32 v17, 0, v18 :: v_dual_max_f32 v18, 0, v19
	v_dual_max_f32 v19, 0, v20 :: v_dual_max_f32 v20, 0, v22
	v_cndmask_b32_e64 v22, 0, v106, s0
	v_cndmask_b32_e64 v24, 0, v107, s0
	v_dual_add_f32 v23, v60, v23 :: v_dual_add_nc_u32 v60, 0x42, v65
	v_cndmask_b32_e64 v26, 0, v109, s0
	s_delay_alu instid0(VALU_DEP_4) | instskip(NEXT) | instid1(VALU_DEP_4)
	v_dual_add_f32 v11, v11, v22 :: v_dual_add_f32 v14, v14, v25
	v_add_f32_e32 v13, v13, v24
	s_and_b32 s0, s1, s3
	v_cmp_gt_i32_e64 s1, s14, v60
	v_max_f32_e32 v21, 0, v23
	v_max_f32_e32 v23, 0, v11
	;; [unrolled: 1-line block ×3, first 2 shown]
	v_add_f32_e32 v11, v12, v26
	s_waitcnt vmcnt(4)
	v_cndmask_b32_e64 v12, 0, v110, s0
	v_cndmask_b32_e64 v14, 0, v111, s0
	v_max_f32_e32 v24, 0, v13
	v_cndmask_b32_e64 v13, 0, v113, s0
	v_max_f32_e32 v22, 0, v31
	v_cndmask_b32_e64 v31, 0, v112, s0
	s_and_b32 s0, s1, vcc_lo
	v_dual_max_f32 v26, 0, v11 :: v_dual_add_f32 v11, v58, v12
	v_add_f32_e32 v12, v59, v14
	s_waitcnt vmcnt(3)
	v_cndmask_b32_e64 v33, 0, v117, s0
	v_cndmask_b32_e64 v14, 0, v114, s0
	;; [unrolled: 1-line block ×4, first 2 shown]
	s_and_b32 s0, s1, s3
	v_cmp_gt_i32_e64 s1, s14, v61
	v_add_f32_e32 v35, v57, v13
	v_add_f32_e32 v31, v56, v31
	v_dual_add_f32 v5, v5, v14 :: v_dual_max_f32 v8, 0, v8
	s_delay_alu instid0(VALU_DEP_4) | instskip(NEXT) | instid1(VALU_DEP_3)
	s_and_b32 vcc_lo, s1, vcc_lo
	v_max_f32_e32 v14, 0, v35
	s_waitcnt vmcnt(1)
	v_dual_cndmask_b32 v35, 0, v123 :: v_dual_max_f32 v10, 0, v10
	v_add_f32_e32 v3, v3, v36
	v_dual_max_f32 v13, 0, v31 :: v_dual_max_f32 v56, 0, v5
	v_add_f32_e32 v5, v6, v49
	v_cndmask_b32_e64 v31, 0, v118, s0
	v_dual_add_f32 v2, v2, v35 :: v_dual_cndmask_b32 v35, 0, v124
	v_max_f32_e32 v57, 0, v3
	s_delay_alu instid0(VALU_DEP_3) | instskip(NEXT) | instid1(VALU_DEP_3)
	v_dual_add_f32 v3, v4, v33 :: v_dual_add_f32 v4, v55, v31
	v_max_f32_e32 v50, 0, v2
	s_delay_alu instid0(VALU_DEP_4)
	v_add_f32_e32 v2, v32, v35
	v_max_f32_e32 v58, 0, v5
	v_cndmask_b32_e64 v5, 0, v119, s0
	v_max_f32_e32 v59, 0, v3
	v_max_f32_e32 v3, 0, v4
	v_cndmask_b32_e64 v31, 0, v120, s0
	v_cndmask_b32_e32 v33, 0, v125, vcc_lo
	v_dual_add_f32 v4, v54, v5 :: v_dual_cndmask_b32 v5, 0, v122
	s_and_b32 vcc_lo, s1, s3
	s_delay_alu instid0(VALU_DEP_3)
	v_add_f32_e32 v31, v51, v31
	s_waitcnt vmcnt(0)
	v_cndmask_b32_e32 v35, 0, v128, vcc_lo
	v_dual_max_f32 v51, 0, v2 :: v_dual_add_f32 v0, v0, v5
	v_cndmask_b32_e64 v6, 0, v121, s0
	v_dual_max_f32 v5, 0, v31 :: v_dual_max_f32 v12, 0, v12
	v_add_f32_e32 v31, v34, v33
	s_delay_alu instid0(VALU_DEP_4)
	v_max_f32_e32 v49, 0, v0
	v_mul_lo_u32 v0, v65, s4
	v_dual_cndmask_b32 v33, 0, v126 :: v_dual_cndmask_b32 v34, 0, v129
	v_cndmask_b32_e32 v32, 0, v127, vcc_lo
	v_cmp_gt_i32_e32 vcc_lo, s8, v64
	v_cmp_gt_i32_e64 s0, s6, v65
	s_delay_alu instid0(VALU_DEP_4)
	v_dual_add_f32 v2, v37, v33 :: v_dual_add_f32 v33, v40, v35
	v_mad_u64_u32 v[35:36], null, v64, s5, v[0:1]
	v_cmp_gt_i32_e64 s1, s8, v130
	s_lshl_b32 s3, s5, 6
	s_and_b32 s8, s0, vcc_lo
	v_add_f32_e32 v32, v39, v32
	s_lshl_b32 s14, s7, 2
	s_and_b32 s0, s0, s1
	s_delay_alu instid0(VALU_DEP_3) | instskip(SKIP_3) | instid1(VALU_DEP_4)
	v_add_nc_u32_e32 v0, s3, v35
	v_add_f32_e32 v6, v52, v6
	v_dual_max_f32 v52, 0, v31 :: v_dual_max_f32 v31, 0, v2
	v_cndmask_b32_e64 v2, 0x80000000, 0, s8
	v_add_nc_u32_e32 v37, s4, v0
	v_cndmask_b32_e64 v36, 0x80000000, 0, s0
	s_and_b32 s0, s2, s1
	s_and_b32 s2, s2, vcc_lo
	v_cndmask_b32_e64 v39, 0x80000000, 0, s0
	v_lshl_add_u32 v2, v35, 2, v2
	v_lshl_add_u32 v0, v0, 2, v36
	v_cmp_gt_i32_e64 s0, s6, v53
	v_dual_max_f32 v4, 0, v4 :: v_dual_max_f32 v33, 0, v33
	v_lshl_add_u32 v36, v37, 2, v39
	s_clause 0x2
	buffer_store_b128 v[66:69], v2, s[12:15], 0 offen
	buffer_store_b128 v[70:73], v0, s[12:15], 0 offen
	;; [unrolled: 1-line block ×3, first 2 shown]
	v_add_nc_u32_e32 v2, s4, v37
	v_add_nc_u32_e32 v0, s4, v35
	s_and_b32 s7, s0, vcc_lo
	s_and_b32 s0, s0, s1
	v_cndmask_b32_e64 v36, 0x80000000, 0, s7
	v_add_nc_u32_e32 v37, s4, v2
	v_add_f32_e32 v1, v1, v34
	v_add_nc_u32_e32 v35, s4, v0
	s_lshl_b32 s7, s4, 8
	v_max_f32_e32 v32, 0, v32
	v_subrev_nc_u32_e32 v40, s3, v37
	v_max_f32_e32 v34, 0, v1
	v_cndmask_b32_e64 v1, 0x80000000, 0, s2
	v_cmp_gt_i32_e64 s2, s6, v38
	v_cndmask_b32_e64 v38, 0x80000000, 0, s0
	v_max_f32_e32 v11, 0, v11
	s_delay_alu instid0(VALU_DEP_4) | instskip(NEXT) | instid1(VALU_DEP_4)
	v_lshl_add_u32 v0, v0, 2, v1
	s_and_b32 s0, s2, s1
	v_lshl_add_u32 v1, v35, 2, v36
	v_cndmask_b32_e64 v39, 0x80000000, 0, s0
	s_and_b32 s0, s2, vcc_lo
	v_lshl_add_u32 v2, v2, 2, v38
	s_add_i32 s2, s5, s4
	v_lshlrev_b32_e32 v36, 2, v40
	v_lshl_add_u32 v35, v37, 2, v39
	v_cndmask_b32_e64 v37, 0x80000000, 0, s0
	v_cmp_gt_i32_e64 s0, s6, v61
	s_clause 0x3
	buffer_store_b128 v[74:77], v0, s[12:15], 0 offen
	buffer_store_b128 v[45:48], v1, s[12:15], 0 offen
	;; [unrolled: 1-line block ×4, first 2 shown]
	v_lshl_add_u32 v1, s2, 6, v40
	v_cmp_ge_i32_e64 s2, s6, v61
	v_add_nc_u32_e32 v0, v36, v37
	s_and_b32 s8, s0, vcc_lo
	s_and_b32 s0, s0, s1
	v_cndmask_b32_e64 v2, 0x80000000, 0, s8
	v_cndmask_b32_e64 v7, 0x80000000, 0, s0
	v_subrev_nc_u32_e32 v8, s4, v1
	s_and_b32 s0, s2, s1
	buffer_store_b128 v[78:81], v0, s[12:15], 0 offen
	v_cndmask_b32_e64 v9, 0x80000000, 0, s0
	v_add3_u32 v2, v2, s7, v36
	v_lshl_add_u32 v0, v1, 2, v7
	v_subrev_nc_u32_e32 v1, s3, v8
	v_cmp_gt_i32_e64 s0, s6, v60
	v_cmp_ge_i32_e64 s2, s6, v60
	v_lshl_add_u32 v7, v8, 2, v9
	s_clause 0x1
	buffer_store_b128 v[49:52], v2, s[12:15], 0 offen
	buffer_store_b128 v[31:34], v0, s[12:15], 0 offen
	v_subrev_nc_u32_e32 v0, s4, v1
	v_max_f32_e32 v6, 0, v6
	s_and_b32 s0, s0, vcc_lo
	s_and_b32 s2, s2, vcc_lo
	v_cndmask_b32_e64 v2, 0x80000000, 0, s0
	v_cmp_gt_i32_e64 s0, s6, v83
	buffer_store_b128 v[3:6], v7, s[12:15], 0 offen
	v_add_nc_u32_e32 v3, s3, v0
	v_cndmask_b32_e64 v4, 0x80000000, 0, s2
	v_cmp_gt_i32_e64 s2, s6, v82
	s_and_b32 s0, s0, s1
	v_lshl_add_u32 v1, v1, 2, v2
	v_cndmask_b32_e64 v6, 0x80000000, 0, s0
	v_cmp_ge_i32_e64 s0, s6, v83
	s_and_b32 s2, s2, vcc_lo
	v_subrev_nc_u32_e32 v5, s4, v3
	v_cndmask_b32_e64 v7, 0x80000000, 0, s2
	s_lshl_b32 s2, s5, 8
	s_and_b32 s0, s0, s1
	v_lshl_add_u32 v0, v0, 2, v4
	v_lshlrev_b32_e32 v5, 2, v5
	v_cndmask_b32_e64 v8, 0x80000000, 0, s0
	v_subrev_nc_u32_e32 v7, s2, v7
	v_lshl_add_u32 v2, v3, 2, v6
	s_delay_alu instid0(VALU_DEP_3) | instskip(NEXT) | instid1(VALU_DEP_3)
	v_add_nc_u32_e32 v3, v5, v8
	v_add_nc_u32_e32 v4, v7, v5
	s_clause 0x4
	buffer_store_b128 v[56:59], v1, s[12:15], 0 offen
	buffer_store_b128 v[23:26], v0, s[12:15], 0 offen
	;; [unrolled: 1-line block ×5, first 2 shown]
	s_nop 0
	s_sendmsg sendmsg(MSG_DEALLOC_VGPRS)
	s_endpgm
	.section	.rodata,"a",@progbits
	.p2align	6, 0x0
	.amdhsa_kernel _ZN2ck16tensor_operation6device12_GLOBAL__N_137kernel_grouped_conv_fwd_dl_multiple_dINS_32GridwiseGemmDlMultipleD_km_kn_mnILi256EffNS_5TupleIJfEEEfNS0_12element_wise11PassThroughES8_NS7_7AddReluELNS_25InMemoryDataOperationEnumE0ENS_16TensorDescriptorINS5_IJNS_5EmbedINS5_IJiiiiEEESD_Lb0EEENS_11PassThroughIiEENS_3PadIiiiLb0EEESI_SG_SG_NSC_INS5_IJiiEEESJ_Lb0EEESK_SG_NS_23Merge_v2_magic_divisionINS5_IJiiiEEEEESN_NS_8RightPadIiiLb0EEESP_NS_7UnMergeISJ_Lb0EEESG_EEENS5_IJNS_8SequenceIJLi0EEEENST_IJLi1EEEENST_IJLi2EEEENST_IJLi3EEEENST_IJLi4EEEENST_IJLi5EEEENST_IJLi6EEEENST_IJLi7EEEENST_IJLi8EEEENST_IJLi9ELi11ELi13EEEENST_IJLi10ELi12ELi14EEEENST_IJLi15EEEENST_IJLi16EEEENST_IJLi18EEEENST_IJLi17EEEEEEENS5_IJNST_IJLi1ELi2ELi3ELi4EEEESZ_S10_S11_S12_NST_IJLi9EEEENST_IJLi10ELi11EEEENST_IJLi12ELi13EEEENST_IJLi14EEEES15_S16_S18_S17_NST_IJLi19ELi20EEEENST_IJLi21EEEEEEENST_IJLi19ELi21ELi20EEEElEENSB_INS5_IJSR_SP_SP_SR_SG_EEENS5_IJSU_SV_SW_SY_SX_EEENS5_IJNST_IJLi1ELi2EEEESX_SY_NST_IJLi5ELi6EEEES11_EEENST_IJLi5ELi7ELi6EEEElEENSB_INS5_IJSK_SP_SP_EEENS5_IJSU_SV_SW_EEENS5_IJS1M_SX_SY_EEENST_IJLi3ELi4EEEElEELi128ELi128ELi16ELi1ELi4ELi4ELi1ENST_IJLi8ELi2EEEES1W_NST_IJLi8ELi1ELi1ELi1EEEENST_IJLi2ELi1ELi128ELi1EEEENST_IJLi1ELi2ELi0ELi3EEEES1Z_NST_IJLi4ELi1ELi1ELi1EEEES1Z_NST_IJLi1ELi1ELi1ELi1EEEES1X_S1Y_S1Z_S1Z_S20_S1Z_S21_NST_IJLi0ELi1ELi2ELi3ELi4ELi5EEEELi5ELi4EEEfNS5_IJPKfEEEfS8_S8_S9_NSB_INS5_IJSE_SG_SI_SI_SG_SG_SK_SK_SG_SN_SN_SP_SP_SR_SG_SG_NSQ_INS5_IJiNS_17integral_constantIiLi128EEEEEELb0EEENSF_INS27_IiLi1EEEEEEEENS5_IJSU_SV_SW_SX_SY_SZ_S10_S11_S12_S13_S14_S15_S16_S17_S18_NST_IJLi19EEEES1G_NST_IJLi20EEEEEEENS5_IJS1A_SZ_S10_S11_S12_S1B_S1C_S1D_S1E_S15_S16_S18_S17_S1F_S1G_NST_IJLi22EEEENST_IJLi23ELi24EEEENST_IJLi25EEEEEEENST_IJLi22ELi23ELi24ELi25EEEElEENSB_INS5_IJSR_SP_SP_SR_SG_SG_S2A_S2C_EEENS5_IJSU_SV_SW_SY_SX_SZ_S11_S10_EEENS5_IJS1M_SX_SY_S1N_S11_S12_NST_IJLi9ELi10EEEENST_IJLi11EEEEEEENST_IJLi8ELi9ELi10ELi11EEEElEENS5_IJNSB_INS5_IJSK_SP_SP_NSQ_INS5_IJiNS27_IiLi2EEENS27_IiLi64EEEEEELb0EEES2X_EEENS5_IJSU_SV_SW_SX_SY_EEENS5_IJS1M_SX_SY_NST_IJLi5ELi6ELi7EEEENST_IJLi8ELi9ELi10EEEEEEENST_IJLi5ELi6ELi7ELi8ELi9ELi10EEEElEEEEES34_NS_31BlockToCTileMap_M00_N00_M01_N01ILi128ELi128ES1V_Lb0EEENS1_30ComputePtrOffsetOfStridedBatchILi1ELi1ELi1EvEELb0ELb0EEEvPKT0_S3C_T1_PT2_T3_T4_T5_iT6_T7_T8_T9_T10_T11_
		.amdhsa_group_segment_fixed_size 32768
		.amdhsa_private_segment_fixed_size 0
		.amdhsa_kernarg_size 968
		.amdhsa_user_sgpr_count 15
		.amdhsa_user_sgpr_dispatch_ptr 0
		.amdhsa_user_sgpr_queue_ptr 0
		.amdhsa_user_sgpr_kernarg_segment_ptr 1
		.amdhsa_user_sgpr_dispatch_id 0
		.amdhsa_user_sgpr_private_segment_size 0
		.amdhsa_wavefront_size32 1
		.amdhsa_uses_dynamic_stack 0
		.amdhsa_enable_private_segment 0
		.amdhsa_system_sgpr_workgroup_id_x 1
		.amdhsa_system_sgpr_workgroup_id_y 0
		.amdhsa_system_sgpr_workgroup_id_z 0
		.amdhsa_system_sgpr_workgroup_info 0
		.amdhsa_system_vgpr_workitem_id 0
		.amdhsa_next_free_vgpr 132
		.amdhsa_next_free_sgpr 58
		.amdhsa_reserve_vcc 1
		.amdhsa_float_round_mode_32 0
		.amdhsa_float_round_mode_16_64 0
		.amdhsa_float_denorm_mode_32 3
		.amdhsa_float_denorm_mode_16_64 3
		.amdhsa_dx10_clamp 1
		.amdhsa_ieee_mode 1
		.amdhsa_fp16_overflow 0
		.amdhsa_workgroup_processor_mode 1
		.amdhsa_memory_ordered 1
		.amdhsa_forward_progress 0
		.amdhsa_shared_vgpr_count 0
		.amdhsa_exception_fp_ieee_invalid_op 0
		.amdhsa_exception_fp_denorm_src 0
		.amdhsa_exception_fp_ieee_div_zero 0
		.amdhsa_exception_fp_ieee_overflow 0
		.amdhsa_exception_fp_ieee_underflow 0
		.amdhsa_exception_fp_ieee_inexact 0
		.amdhsa_exception_int_div_zero 0
	.end_amdhsa_kernel
	.section	.text._ZN2ck16tensor_operation6device12_GLOBAL__N_137kernel_grouped_conv_fwd_dl_multiple_dINS_32GridwiseGemmDlMultipleD_km_kn_mnILi256EffNS_5TupleIJfEEEfNS0_12element_wise11PassThroughES8_NS7_7AddReluELNS_25InMemoryDataOperationEnumE0ENS_16TensorDescriptorINS5_IJNS_5EmbedINS5_IJiiiiEEESD_Lb0EEENS_11PassThroughIiEENS_3PadIiiiLb0EEESI_SG_SG_NSC_INS5_IJiiEEESJ_Lb0EEESK_SG_NS_23Merge_v2_magic_divisionINS5_IJiiiEEEEESN_NS_8RightPadIiiLb0EEESP_NS_7UnMergeISJ_Lb0EEESG_EEENS5_IJNS_8SequenceIJLi0EEEENST_IJLi1EEEENST_IJLi2EEEENST_IJLi3EEEENST_IJLi4EEEENST_IJLi5EEEENST_IJLi6EEEENST_IJLi7EEEENST_IJLi8EEEENST_IJLi9ELi11ELi13EEEENST_IJLi10ELi12ELi14EEEENST_IJLi15EEEENST_IJLi16EEEENST_IJLi18EEEENST_IJLi17EEEEEEENS5_IJNST_IJLi1ELi2ELi3ELi4EEEESZ_S10_S11_S12_NST_IJLi9EEEENST_IJLi10ELi11EEEENST_IJLi12ELi13EEEENST_IJLi14EEEES15_S16_S18_S17_NST_IJLi19ELi20EEEENST_IJLi21EEEEEEENST_IJLi19ELi21ELi20EEEElEENSB_INS5_IJSR_SP_SP_SR_SG_EEENS5_IJSU_SV_SW_SY_SX_EEENS5_IJNST_IJLi1ELi2EEEESX_SY_NST_IJLi5ELi6EEEES11_EEENST_IJLi5ELi7ELi6EEEElEENSB_INS5_IJSK_SP_SP_EEENS5_IJSU_SV_SW_EEENS5_IJS1M_SX_SY_EEENST_IJLi3ELi4EEEElEELi128ELi128ELi16ELi1ELi4ELi4ELi1ENST_IJLi8ELi2EEEES1W_NST_IJLi8ELi1ELi1ELi1EEEENST_IJLi2ELi1ELi128ELi1EEEENST_IJLi1ELi2ELi0ELi3EEEES1Z_NST_IJLi4ELi1ELi1ELi1EEEES1Z_NST_IJLi1ELi1ELi1ELi1EEEES1X_S1Y_S1Z_S1Z_S20_S1Z_S21_NST_IJLi0ELi1ELi2ELi3ELi4ELi5EEEELi5ELi4EEEfNS5_IJPKfEEEfS8_S8_S9_NSB_INS5_IJSE_SG_SI_SI_SG_SG_SK_SK_SG_SN_SN_SP_SP_SR_SG_SG_NSQ_INS5_IJiNS_17integral_constantIiLi128EEEEEELb0EEENSF_INS27_IiLi1EEEEEEEENS5_IJSU_SV_SW_SX_SY_SZ_S10_S11_S12_S13_S14_S15_S16_S17_S18_NST_IJLi19EEEES1G_NST_IJLi20EEEEEEENS5_IJS1A_SZ_S10_S11_S12_S1B_S1C_S1D_S1E_S15_S16_S18_S17_S1F_S1G_NST_IJLi22EEEENST_IJLi23ELi24EEEENST_IJLi25EEEEEEENST_IJLi22ELi23ELi24ELi25EEEElEENSB_INS5_IJSR_SP_SP_SR_SG_SG_S2A_S2C_EEENS5_IJSU_SV_SW_SY_SX_SZ_S11_S10_EEENS5_IJS1M_SX_SY_S1N_S11_S12_NST_IJLi9ELi10EEEENST_IJLi11EEEEEEENST_IJLi8ELi9ELi10ELi11EEEElEENS5_IJNSB_INS5_IJSK_SP_SP_NSQ_INS5_IJiNS27_IiLi2EEENS27_IiLi64EEEEEELb0EEES2X_EEENS5_IJSU_SV_SW_SX_SY_EEENS5_IJS1M_SX_SY_NST_IJLi5ELi6ELi7EEEENST_IJLi8ELi9ELi10EEEEEEENST_IJLi5ELi6ELi7ELi8ELi9ELi10EEEElEEEEES34_NS_31BlockToCTileMap_M00_N00_M01_N01ILi128ELi128ES1V_Lb0EEENS1_30ComputePtrOffsetOfStridedBatchILi1ELi1ELi1EvEELb0ELb0EEEvPKT0_S3C_T1_PT2_T3_T4_T5_iT6_T7_T8_T9_T10_T11_,"axG",@progbits,_ZN2ck16tensor_operation6device12_GLOBAL__N_137kernel_grouped_conv_fwd_dl_multiple_dINS_32GridwiseGemmDlMultipleD_km_kn_mnILi256EffNS_5TupleIJfEEEfNS0_12element_wise11PassThroughES8_NS7_7AddReluELNS_25InMemoryDataOperationEnumE0ENS_16TensorDescriptorINS5_IJNS_5EmbedINS5_IJiiiiEEESD_Lb0EEENS_11PassThroughIiEENS_3PadIiiiLb0EEESI_SG_SG_NSC_INS5_IJiiEEESJ_Lb0EEESK_SG_NS_23Merge_v2_magic_divisionINS5_IJiiiEEEEESN_NS_8RightPadIiiLb0EEESP_NS_7UnMergeISJ_Lb0EEESG_EEENS5_IJNS_8SequenceIJLi0EEEENST_IJLi1EEEENST_IJLi2EEEENST_IJLi3EEEENST_IJLi4EEEENST_IJLi5EEEENST_IJLi6EEEENST_IJLi7EEEENST_IJLi8EEEENST_IJLi9ELi11ELi13EEEENST_IJLi10ELi12ELi14EEEENST_IJLi15EEEENST_IJLi16EEEENST_IJLi18EEEENST_IJLi17EEEEEEENS5_IJNST_IJLi1ELi2ELi3ELi4EEEESZ_S10_S11_S12_NST_IJLi9EEEENST_IJLi10ELi11EEEENST_IJLi12ELi13EEEENST_IJLi14EEEES15_S16_S18_S17_NST_IJLi19ELi20EEEENST_IJLi21EEEEEEENST_IJLi19ELi21ELi20EEEElEENSB_INS5_IJSR_SP_SP_SR_SG_EEENS5_IJSU_SV_SW_SY_SX_EEENS5_IJNST_IJLi1ELi2EEEESX_SY_NST_IJLi5ELi6EEEES11_EEENST_IJLi5ELi7ELi6EEEElEENSB_INS5_IJSK_SP_SP_EEENS5_IJSU_SV_SW_EEENS5_IJS1M_SX_SY_EEENST_IJLi3ELi4EEEElEELi128ELi128ELi16ELi1ELi4ELi4ELi1ENST_IJLi8ELi2EEEES1W_NST_IJLi8ELi1ELi1ELi1EEEENST_IJLi2ELi1ELi128ELi1EEEENST_IJLi1ELi2ELi0ELi3EEEES1Z_NST_IJLi4ELi1ELi1ELi1EEEES1Z_NST_IJLi1ELi1ELi1ELi1EEEES1X_S1Y_S1Z_S1Z_S20_S1Z_S21_NST_IJLi0ELi1ELi2ELi3ELi4ELi5EEEELi5ELi4EEEfNS5_IJPKfEEEfS8_S8_S9_NSB_INS5_IJSE_SG_SI_SI_SG_SG_SK_SK_SG_SN_SN_SP_SP_SR_SG_SG_NSQ_INS5_IJiNS_17integral_constantIiLi128EEEEEELb0EEENSF_INS27_IiLi1EEEEEEEENS5_IJSU_SV_SW_SX_SY_SZ_S10_S11_S12_S13_S14_S15_S16_S17_S18_NST_IJLi19EEEES1G_NST_IJLi20EEEEEEENS5_IJS1A_SZ_S10_S11_S12_S1B_S1C_S1D_S1E_S15_S16_S18_S17_S1F_S1G_NST_IJLi22EEEENST_IJLi23ELi24EEEENST_IJLi25EEEEEEENST_IJLi22ELi23ELi24ELi25EEEElEENSB_INS5_IJSR_SP_SP_SR_SG_SG_S2A_S2C_EEENS5_IJSU_SV_SW_SY_SX_SZ_S11_S10_EEENS5_IJS1M_SX_SY_S1N_S11_S12_NST_IJLi9ELi10EEEENST_IJLi11EEEEEEENST_IJLi8ELi9ELi10ELi11EEEElEENS5_IJNSB_INS5_IJSK_SP_SP_NSQ_INS5_IJiNS27_IiLi2EEENS27_IiLi64EEEEEELb0EEES2X_EEENS5_IJSU_SV_SW_SX_SY_EEENS5_IJS1M_SX_SY_NST_IJLi5ELi6ELi7EEEENST_IJLi8ELi9ELi10EEEEEEENST_IJLi5ELi6ELi7ELi8ELi9ELi10EEEElEEEEES34_NS_31BlockToCTileMap_M00_N00_M01_N01ILi128ELi128ES1V_Lb0EEENS1_30ComputePtrOffsetOfStridedBatchILi1ELi1ELi1EvEELb0ELb0EEEvPKT0_S3C_T1_PT2_T3_T4_T5_iT6_T7_T8_T9_T10_T11_,comdat
.Lfunc_end12:
	.size	_ZN2ck16tensor_operation6device12_GLOBAL__N_137kernel_grouped_conv_fwd_dl_multiple_dINS_32GridwiseGemmDlMultipleD_km_kn_mnILi256EffNS_5TupleIJfEEEfNS0_12element_wise11PassThroughES8_NS7_7AddReluELNS_25InMemoryDataOperationEnumE0ENS_16TensorDescriptorINS5_IJNS_5EmbedINS5_IJiiiiEEESD_Lb0EEENS_11PassThroughIiEENS_3PadIiiiLb0EEESI_SG_SG_NSC_INS5_IJiiEEESJ_Lb0EEESK_SG_NS_23Merge_v2_magic_divisionINS5_IJiiiEEEEESN_NS_8RightPadIiiLb0EEESP_NS_7UnMergeISJ_Lb0EEESG_EEENS5_IJNS_8SequenceIJLi0EEEENST_IJLi1EEEENST_IJLi2EEEENST_IJLi3EEEENST_IJLi4EEEENST_IJLi5EEEENST_IJLi6EEEENST_IJLi7EEEENST_IJLi8EEEENST_IJLi9ELi11ELi13EEEENST_IJLi10ELi12ELi14EEEENST_IJLi15EEEENST_IJLi16EEEENST_IJLi18EEEENST_IJLi17EEEEEEENS5_IJNST_IJLi1ELi2ELi3ELi4EEEESZ_S10_S11_S12_NST_IJLi9EEEENST_IJLi10ELi11EEEENST_IJLi12ELi13EEEENST_IJLi14EEEES15_S16_S18_S17_NST_IJLi19ELi20EEEENST_IJLi21EEEEEEENST_IJLi19ELi21ELi20EEEElEENSB_INS5_IJSR_SP_SP_SR_SG_EEENS5_IJSU_SV_SW_SY_SX_EEENS5_IJNST_IJLi1ELi2EEEESX_SY_NST_IJLi5ELi6EEEES11_EEENST_IJLi5ELi7ELi6EEEElEENSB_INS5_IJSK_SP_SP_EEENS5_IJSU_SV_SW_EEENS5_IJS1M_SX_SY_EEENST_IJLi3ELi4EEEElEELi128ELi128ELi16ELi1ELi4ELi4ELi1ENST_IJLi8ELi2EEEES1W_NST_IJLi8ELi1ELi1ELi1EEEENST_IJLi2ELi1ELi128ELi1EEEENST_IJLi1ELi2ELi0ELi3EEEES1Z_NST_IJLi4ELi1ELi1ELi1EEEES1Z_NST_IJLi1ELi1ELi1ELi1EEEES1X_S1Y_S1Z_S1Z_S20_S1Z_S21_NST_IJLi0ELi1ELi2ELi3ELi4ELi5EEEELi5ELi4EEEfNS5_IJPKfEEEfS8_S8_S9_NSB_INS5_IJSE_SG_SI_SI_SG_SG_SK_SK_SG_SN_SN_SP_SP_SR_SG_SG_NSQ_INS5_IJiNS_17integral_constantIiLi128EEEEEELb0EEENSF_INS27_IiLi1EEEEEEEENS5_IJSU_SV_SW_SX_SY_SZ_S10_S11_S12_S13_S14_S15_S16_S17_S18_NST_IJLi19EEEES1G_NST_IJLi20EEEEEEENS5_IJS1A_SZ_S10_S11_S12_S1B_S1C_S1D_S1E_S15_S16_S18_S17_S1F_S1G_NST_IJLi22EEEENST_IJLi23ELi24EEEENST_IJLi25EEEEEEENST_IJLi22ELi23ELi24ELi25EEEElEENSB_INS5_IJSR_SP_SP_SR_SG_SG_S2A_S2C_EEENS5_IJSU_SV_SW_SY_SX_SZ_S11_S10_EEENS5_IJS1M_SX_SY_S1N_S11_S12_NST_IJLi9ELi10EEEENST_IJLi11EEEEEEENST_IJLi8ELi9ELi10ELi11EEEElEENS5_IJNSB_INS5_IJSK_SP_SP_NSQ_INS5_IJiNS27_IiLi2EEENS27_IiLi64EEEEEELb0EEES2X_EEENS5_IJSU_SV_SW_SX_SY_EEENS5_IJS1M_SX_SY_NST_IJLi5ELi6ELi7EEEENST_IJLi8ELi9ELi10EEEEEEENST_IJLi5ELi6ELi7ELi8ELi9ELi10EEEElEEEEES34_NS_31BlockToCTileMap_M00_N00_M01_N01ILi128ELi128ES1V_Lb0EEENS1_30ComputePtrOffsetOfStridedBatchILi1ELi1ELi1EvEELb0ELb0EEEvPKT0_S3C_T1_PT2_T3_T4_T5_iT6_T7_T8_T9_T10_T11_, .Lfunc_end12-_ZN2ck16tensor_operation6device12_GLOBAL__N_137kernel_grouped_conv_fwd_dl_multiple_dINS_32GridwiseGemmDlMultipleD_km_kn_mnILi256EffNS_5TupleIJfEEEfNS0_12element_wise11PassThroughES8_NS7_7AddReluELNS_25InMemoryDataOperationEnumE0ENS_16TensorDescriptorINS5_IJNS_5EmbedINS5_IJiiiiEEESD_Lb0EEENS_11PassThroughIiEENS_3PadIiiiLb0EEESI_SG_SG_NSC_INS5_IJiiEEESJ_Lb0EEESK_SG_NS_23Merge_v2_magic_divisionINS5_IJiiiEEEEESN_NS_8RightPadIiiLb0EEESP_NS_7UnMergeISJ_Lb0EEESG_EEENS5_IJNS_8SequenceIJLi0EEEENST_IJLi1EEEENST_IJLi2EEEENST_IJLi3EEEENST_IJLi4EEEENST_IJLi5EEEENST_IJLi6EEEENST_IJLi7EEEENST_IJLi8EEEENST_IJLi9ELi11ELi13EEEENST_IJLi10ELi12ELi14EEEENST_IJLi15EEEENST_IJLi16EEEENST_IJLi18EEEENST_IJLi17EEEEEEENS5_IJNST_IJLi1ELi2ELi3ELi4EEEESZ_S10_S11_S12_NST_IJLi9EEEENST_IJLi10ELi11EEEENST_IJLi12ELi13EEEENST_IJLi14EEEES15_S16_S18_S17_NST_IJLi19ELi20EEEENST_IJLi21EEEEEEENST_IJLi19ELi21ELi20EEEElEENSB_INS5_IJSR_SP_SP_SR_SG_EEENS5_IJSU_SV_SW_SY_SX_EEENS5_IJNST_IJLi1ELi2EEEESX_SY_NST_IJLi5ELi6EEEES11_EEENST_IJLi5ELi7ELi6EEEElEENSB_INS5_IJSK_SP_SP_EEENS5_IJSU_SV_SW_EEENS5_IJS1M_SX_SY_EEENST_IJLi3ELi4EEEElEELi128ELi128ELi16ELi1ELi4ELi4ELi1ENST_IJLi8ELi2EEEES1W_NST_IJLi8ELi1ELi1ELi1EEEENST_IJLi2ELi1ELi128ELi1EEEENST_IJLi1ELi2ELi0ELi3EEEES1Z_NST_IJLi4ELi1ELi1ELi1EEEES1Z_NST_IJLi1ELi1ELi1ELi1EEEES1X_S1Y_S1Z_S1Z_S20_S1Z_S21_NST_IJLi0ELi1ELi2ELi3ELi4ELi5EEEELi5ELi4EEEfNS5_IJPKfEEEfS8_S8_S9_NSB_INS5_IJSE_SG_SI_SI_SG_SG_SK_SK_SG_SN_SN_SP_SP_SR_SG_SG_NSQ_INS5_IJiNS_17integral_constantIiLi128EEEEEELb0EEENSF_INS27_IiLi1EEEEEEEENS5_IJSU_SV_SW_SX_SY_SZ_S10_S11_S12_S13_S14_S15_S16_S17_S18_NST_IJLi19EEEES1G_NST_IJLi20EEEEEEENS5_IJS1A_SZ_S10_S11_S12_S1B_S1C_S1D_S1E_S15_S16_S18_S17_S1F_S1G_NST_IJLi22EEEENST_IJLi23ELi24EEEENST_IJLi25EEEEEEENST_IJLi22ELi23ELi24ELi25EEEElEENSB_INS5_IJSR_SP_SP_SR_SG_SG_S2A_S2C_EEENS5_IJSU_SV_SW_SY_SX_SZ_S11_S10_EEENS5_IJS1M_SX_SY_S1N_S11_S12_NST_IJLi9ELi10EEEENST_IJLi11EEEEEEENST_IJLi8ELi9ELi10ELi11EEEElEENS5_IJNSB_INS5_IJSK_SP_SP_NSQ_INS5_IJiNS27_IiLi2EEENS27_IiLi64EEEEEELb0EEES2X_EEENS5_IJSU_SV_SW_SX_SY_EEENS5_IJS1M_SX_SY_NST_IJLi5ELi6ELi7EEEENST_IJLi8ELi9ELi10EEEEEEENST_IJLi5ELi6ELi7ELi8ELi9ELi10EEEElEEEEES34_NS_31BlockToCTileMap_M00_N00_M01_N01ILi128ELi128ES1V_Lb0EEENS1_30ComputePtrOffsetOfStridedBatchILi1ELi1ELi1EvEELb0ELb0EEEvPKT0_S3C_T1_PT2_T3_T4_T5_iT6_T7_T8_T9_T10_T11_
                                        ; -- End function
	.section	.AMDGPU.csdata,"",@progbits
; Kernel info:
; codeLenInByte = 25536
; NumSgprs: 60
; NumVgprs: 132
; ScratchSize: 0
; MemoryBound: 0
; FloatMode: 240
; IeeeMode: 1
; LDSByteSize: 32768 bytes/workgroup (compile time only)
; SGPRBlocks: 7
; VGPRBlocks: 16
; NumSGPRsForWavesPerEU: 60
; NumVGPRsForWavesPerEU: 132
; Occupancy: 8
; WaveLimiterHint : 0
; COMPUTE_PGM_RSRC2:SCRATCH_EN: 0
; COMPUTE_PGM_RSRC2:USER_SGPR: 15
; COMPUTE_PGM_RSRC2:TRAP_HANDLER: 0
; COMPUTE_PGM_RSRC2:TGID_X_EN: 1
; COMPUTE_PGM_RSRC2:TGID_Y_EN: 0
; COMPUTE_PGM_RSRC2:TGID_Z_EN: 0
; COMPUTE_PGM_RSRC2:TIDIG_COMP_CNT: 0
	.text
	.p2align	2                               ; -- Begin function _ZN2ck32GridwiseGemmDlMultipleD_km_kn_mnILi256EffNS_5TupleIJfEEEfNS_16tensor_operation12element_wise11PassThroughES5_NS4_7AddReluELNS_25InMemoryDataOperationEnumE0ENS_16TensorDescriptorINS1_IJNS_5EmbedINS1_IJiiiiiEEESA_Lb0EEENS_11PassThroughIiEENS_3PadIiiiLb0EEESF_SF_SD_SD_NS9_INS1_IJiiEEESG_Lb0EEESH_SH_SD_NS_23Merge_v2_magic_divisionINS1_IJiiiiEEEEESK_NS_8RightPadIiiLb0EEESM_NS_7UnMergeISG_Lb0EEESD_EEENS1_IJNS_8SequenceIJLi0EEEENSQ_IJLi1EEEENSQ_IJLi2EEEENSQ_IJLi3EEEENSQ_IJLi4EEEENSQ_IJLi5EEEENSQ_IJLi6EEEENSQ_IJLi7EEEENSQ_IJLi8EEEENSQ_IJLi9EEEENSQ_IJLi10EEEENSQ_IJLi11ELi13ELi15ELi17EEEENSQ_IJLi12ELi14ELi16ELi18EEEENSQ_IJLi19EEEENSQ_IJLi20EEEENSQ_IJLi22EEEENSQ_IJLi21EEEEEEENS1_IJNSQ_IJLi1ELi2ELi3ELi4ELi5EEEESX_SY_SZ_S10_S11_NSQ_IJLi11EEEENSQ_IJLi12ELi13EEEENSQ_IJLi14ELi15EEEENSQ_IJLi16ELi17EEEENSQ_IJLi18EEEES14_S15_S17_S16_NSQ_IJLi23ELi24EEEENSQ_IJLi25EEEEEEENSQ_IJLi23ELi25ELi24EEEElEENS8_INS1_IJSO_SM_SM_SO_SD_EEENS1_IJSR_SS_ST_SV_SU_EEENS1_IJNSQ_IJLi1ELi2EEEESU_SV_NSQ_IJLi5ELi6EEEESY_EEENSQ_IJLi5ELi7ELi6EEEElEENS8_INS1_IJSH_SM_SM_EEENS1_IJSR_SS_ST_EEENS1_IJS1M_SU_SV_EEENSQ_IJLi3ELi4EEEElEELi128ELi128ELi16ELi1ELi4ELi4ELi1ENSQ_IJLi8ELi2EEEES1W_NSQ_IJLi8ELi1ELi1ELi1EEEENSQ_IJLi2ELi1ELi128ELi1EEEENSQ_IJLi1ELi2ELi0ELi3EEEES1Z_NSQ_IJLi4ELi1ELi1ELi1EEEES1Z_NSQ_IJLi1ELi1ELi1ELi1EEEES1X_S1Y_S1Z_S1Z_S20_S1Z_S21_NSQ_IJLi0ELi1ELi2ELi3ELi4ELi5EEEELi5ELi4EE3RunINS1_IJNS8_INS1_IJSH_SM_SM_NSN_INS1_IJiNS_17integral_constantIiLi2EEENS25_IiLi64EEEEEELb0EEES29_EEENS1_IJSR_SS_ST_SU_SV_EEENS1_IJS1M_SU_SV_NSQ_IJLi5ELi6ELi7EEEENSQ_IJLi8ELi9ELi10EEEEEEENSQ_IJLi5ELi6ELi7ELi8ELi9ELi10EEEElEEEEELb1ELb1ENS_31BlockToCTileMap_M00_N00_M01_N01ILi128ELi128ES1V_Lb0EEEEEvPKfS2L_NS1_IJS2L_EEEPfPvRKS5_S2Q_RKS6_RKNS8_INS1_IJSB_SD_SF_SF_SF_SD_SD_SH_SH_SH_SD_SK_SK_SM_SM_SO_SD_SD_NSN_INS1_IJiNS25_IiLi128EEEEEELb0EEENSC_INS25_IiLi1EEEEEEEENS1_IJSR_SS_ST_SU_SV_SW_SX_SY_SZ_S10_S11_S12_S13_S14_S15_S16_S17_NSQ_IJLi23EEEES1G_NSQ_IJLi24EEEEEEENS1_IJS19_SX_SY_SZ_S10_S11_S1A_S1B_S1C_S1D_S1E_S14_S15_S17_S16_S1F_S1G_NSQ_IJLi26EEEENSQ_IJLi27ELi28EEEENSQ_IJLi29EEEEEEENSQ_IJLi26ELi27ELi28ELi29EEEElEERKNS8_INS1_IJSO_SM_SM_SO_SD_SD_S2V_S2X_EEENS1_IJSR_SS_ST_SV_SU_SW_SY_SX_EEENS1_IJS1M_SU_SV_S1N_SY_SZ_NSQ_IJLi9ELi10EEEES1A_EEENSQ_IJLi8ELi9ELi10ELi11EEEElEERKT_RKS2G_RKT2_NS25_IbXT0_EEENS25_IbXT1_EEE
	.type	_ZN2ck32GridwiseGemmDlMultipleD_km_kn_mnILi256EffNS_5TupleIJfEEEfNS_16tensor_operation12element_wise11PassThroughES5_NS4_7AddReluELNS_25InMemoryDataOperationEnumE0ENS_16TensorDescriptorINS1_IJNS_5EmbedINS1_IJiiiiiEEESA_Lb0EEENS_11PassThroughIiEENS_3PadIiiiLb0EEESF_SF_SD_SD_NS9_INS1_IJiiEEESG_Lb0EEESH_SH_SD_NS_23Merge_v2_magic_divisionINS1_IJiiiiEEEEESK_NS_8RightPadIiiLb0EEESM_NS_7UnMergeISG_Lb0EEESD_EEENS1_IJNS_8SequenceIJLi0EEEENSQ_IJLi1EEEENSQ_IJLi2EEEENSQ_IJLi3EEEENSQ_IJLi4EEEENSQ_IJLi5EEEENSQ_IJLi6EEEENSQ_IJLi7EEEENSQ_IJLi8EEEENSQ_IJLi9EEEENSQ_IJLi10EEEENSQ_IJLi11ELi13ELi15ELi17EEEENSQ_IJLi12ELi14ELi16ELi18EEEENSQ_IJLi19EEEENSQ_IJLi20EEEENSQ_IJLi22EEEENSQ_IJLi21EEEEEEENS1_IJNSQ_IJLi1ELi2ELi3ELi4ELi5EEEESX_SY_SZ_S10_S11_NSQ_IJLi11EEEENSQ_IJLi12ELi13EEEENSQ_IJLi14ELi15EEEENSQ_IJLi16ELi17EEEENSQ_IJLi18EEEES14_S15_S17_S16_NSQ_IJLi23ELi24EEEENSQ_IJLi25EEEEEEENSQ_IJLi23ELi25ELi24EEEElEENS8_INS1_IJSO_SM_SM_SO_SD_EEENS1_IJSR_SS_ST_SV_SU_EEENS1_IJNSQ_IJLi1ELi2EEEESU_SV_NSQ_IJLi5ELi6EEEESY_EEENSQ_IJLi5ELi7ELi6EEEElEENS8_INS1_IJSH_SM_SM_EEENS1_IJSR_SS_ST_EEENS1_IJS1M_SU_SV_EEENSQ_IJLi3ELi4EEEElEELi128ELi128ELi16ELi1ELi4ELi4ELi1ENSQ_IJLi8ELi2EEEES1W_NSQ_IJLi8ELi1ELi1ELi1EEEENSQ_IJLi2ELi1ELi128ELi1EEEENSQ_IJLi1ELi2ELi0ELi3EEEES1Z_NSQ_IJLi4ELi1ELi1ELi1EEEES1Z_NSQ_IJLi1ELi1ELi1ELi1EEEES1X_S1Y_S1Z_S1Z_S20_S1Z_S21_NSQ_IJLi0ELi1ELi2ELi3ELi4ELi5EEEELi5ELi4EE3RunINS1_IJNS8_INS1_IJSH_SM_SM_NSN_INS1_IJiNS_17integral_constantIiLi2EEENS25_IiLi64EEEEEELb0EEES29_EEENS1_IJSR_SS_ST_SU_SV_EEENS1_IJS1M_SU_SV_NSQ_IJLi5ELi6ELi7EEEENSQ_IJLi8ELi9ELi10EEEEEEENSQ_IJLi5ELi6ELi7ELi8ELi9ELi10EEEElEEEEELb1ELb1ENS_31BlockToCTileMap_M00_N00_M01_N01ILi128ELi128ES1V_Lb0EEEEEvPKfS2L_NS1_IJS2L_EEEPfPvRKS5_S2Q_RKS6_RKNS8_INS1_IJSB_SD_SF_SF_SF_SD_SD_SH_SH_SH_SD_SK_SK_SM_SM_SO_SD_SD_NSN_INS1_IJiNS25_IiLi128EEEEEELb0EEENSC_INS25_IiLi1EEEEEEEENS1_IJSR_SS_ST_SU_SV_SW_SX_SY_SZ_S10_S11_S12_S13_S14_S15_S16_S17_NSQ_IJLi23EEEES1G_NSQ_IJLi24EEEEEEENS1_IJS19_SX_SY_SZ_S10_S11_S1A_S1B_S1C_S1D_S1E_S14_S15_S17_S16_S1F_S1G_NSQ_IJLi26EEEENSQ_IJLi27ELi28EEEENSQ_IJLi29EEEEEEENSQ_IJLi26ELi27ELi28ELi29EEEElEERKNS8_INS1_IJSO_SM_SM_SO_SD_SD_S2V_S2X_EEENS1_IJSR_SS_ST_SV_SU_SW_SY_SX_EEENS1_IJS1M_SU_SV_S1N_SY_SZ_NSQ_IJLi9ELi10EEEES1A_EEENSQ_IJLi8ELi9ELi10ELi11EEEElEERKT_RKS2G_RKT2_NS25_IbXT0_EEENS25_IbXT1_EEE,@function
_ZN2ck32GridwiseGemmDlMultipleD_km_kn_mnILi256EffNS_5TupleIJfEEEfNS_16tensor_operation12element_wise11PassThroughES5_NS4_7AddReluELNS_25InMemoryDataOperationEnumE0ENS_16TensorDescriptorINS1_IJNS_5EmbedINS1_IJiiiiiEEESA_Lb0EEENS_11PassThroughIiEENS_3PadIiiiLb0EEESF_SF_SD_SD_NS9_INS1_IJiiEEESG_Lb0EEESH_SH_SD_NS_23Merge_v2_magic_divisionINS1_IJiiiiEEEEESK_NS_8RightPadIiiLb0EEESM_NS_7UnMergeISG_Lb0EEESD_EEENS1_IJNS_8SequenceIJLi0EEEENSQ_IJLi1EEEENSQ_IJLi2EEEENSQ_IJLi3EEEENSQ_IJLi4EEEENSQ_IJLi5EEEENSQ_IJLi6EEEENSQ_IJLi7EEEENSQ_IJLi8EEEENSQ_IJLi9EEEENSQ_IJLi10EEEENSQ_IJLi11ELi13ELi15ELi17EEEENSQ_IJLi12ELi14ELi16ELi18EEEENSQ_IJLi19EEEENSQ_IJLi20EEEENSQ_IJLi22EEEENSQ_IJLi21EEEEEEENS1_IJNSQ_IJLi1ELi2ELi3ELi4ELi5EEEESX_SY_SZ_S10_S11_NSQ_IJLi11EEEENSQ_IJLi12ELi13EEEENSQ_IJLi14ELi15EEEENSQ_IJLi16ELi17EEEENSQ_IJLi18EEEES14_S15_S17_S16_NSQ_IJLi23ELi24EEEENSQ_IJLi25EEEEEEENSQ_IJLi23ELi25ELi24EEEElEENS8_INS1_IJSO_SM_SM_SO_SD_EEENS1_IJSR_SS_ST_SV_SU_EEENS1_IJNSQ_IJLi1ELi2EEEESU_SV_NSQ_IJLi5ELi6EEEESY_EEENSQ_IJLi5ELi7ELi6EEEElEENS8_INS1_IJSH_SM_SM_EEENS1_IJSR_SS_ST_EEENS1_IJS1M_SU_SV_EEENSQ_IJLi3ELi4EEEElEELi128ELi128ELi16ELi1ELi4ELi4ELi1ENSQ_IJLi8ELi2EEEES1W_NSQ_IJLi8ELi1ELi1ELi1EEEENSQ_IJLi2ELi1ELi128ELi1EEEENSQ_IJLi1ELi2ELi0ELi3EEEES1Z_NSQ_IJLi4ELi1ELi1ELi1EEEES1Z_NSQ_IJLi1ELi1ELi1ELi1EEEES1X_S1Y_S1Z_S1Z_S20_S1Z_S21_NSQ_IJLi0ELi1ELi2ELi3ELi4ELi5EEEELi5ELi4EE3RunINS1_IJNS8_INS1_IJSH_SM_SM_NSN_INS1_IJiNS_17integral_constantIiLi2EEENS25_IiLi64EEEEEELb0EEES29_EEENS1_IJSR_SS_ST_SU_SV_EEENS1_IJS1M_SU_SV_NSQ_IJLi5ELi6ELi7EEEENSQ_IJLi8ELi9ELi10EEEEEEENSQ_IJLi5ELi6ELi7ELi8ELi9ELi10EEEElEEEEELb1ELb1ENS_31BlockToCTileMap_M00_N00_M01_N01ILi128ELi128ES1V_Lb0EEEEEvPKfS2L_NS1_IJS2L_EEEPfPvRKS5_S2Q_RKS6_RKNS8_INS1_IJSB_SD_SF_SF_SF_SD_SD_SH_SH_SH_SD_SK_SK_SM_SM_SO_SD_SD_NSN_INS1_IJiNS25_IiLi128EEEEEELb0EEENSC_INS25_IiLi1EEEEEEEENS1_IJSR_SS_ST_SU_SV_SW_SX_SY_SZ_S10_S11_S12_S13_S14_S15_S16_S17_NSQ_IJLi23EEEES1G_NSQ_IJLi24EEEEEEENS1_IJS19_SX_SY_SZ_S10_S11_S1A_S1B_S1C_S1D_S1E_S14_S15_S17_S16_S1F_S1G_NSQ_IJLi26EEEENSQ_IJLi27ELi28EEEENSQ_IJLi29EEEEEEENSQ_IJLi26ELi27ELi28ELi29EEEElEERKNS8_INS1_IJSO_SM_SM_SO_SD_SD_S2V_S2X_EEENS1_IJSR_SS_ST_SV_SU_SW_SY_SX_EEENS1_IJS1M_SU_SV_S1N_SY_SZ_NSQ_IJLi9ELi10EEEES1A_EEENSQ_IJLi8ELi9ELi10ELi11EEEElEERKT_RKS2G_RKT2_NS25_IbXT0_EEENS25_IbXT1_EEE: ; @_ZN2ck32GridwiseGemmDlMultipleD_km_kn_mnILi256EffNS_5TupleIJfEEEfNS_16tensor_operation12element_wise11PassThroughES5_NS4_7AddReluELNS_25InMemoryDataOperationEnumE0ENS_16TensorDescriptorINS1_IJNS_5EmbedINS1_IJiiiiiEEESA_Lb0EEENS_11PassThroughIiEENS_3PadIiiiLb0EEESF_SF_SD_SD_NS9_INS1_IJiiEEESG_Lb0EEESH_SH_SD_NS_23Merge_v2_magic_divisionINS1_IJiiiiEEEEESK_NS_8RightPadIiiLb0EEESM_NS_7UnMergeISG_Lb0EEESD_EEENS1_IJNS_8SequenceIJLi0EEEENSQ_IJLi1EEEENSQ_IJLi2EEEENSQ_IJLi3EEEENSQ_IJLi4EEEENSQ_IJLi5EEEENSQ_IJLi6EEEENSQ_IJLi7EEEENSQ_IJLi8EEEENSQ_IJLi9EEEENSQ_IJLi10EEEENSQ_IJLi11ELi13ELi15ELi17EEEENSQ_IJLi12ELi14ELi16ELi18EEEENSQ_IJLi19EEEENSQ_IJLi20EEEENSQ_IJLi22EEEENSQ_IJLi21EEEEEEENS1_IJNSQ_IJLi1ELi2ELi3ELi4ELi5EEEESX_SY_SZ_S10_S11_NSQ_IJLi11EEEENSQ_IJLi12ELi13EEEENSQ_IJLi14ELi15EEEENSQ_IJLi16ELi17EEEENSQ_IJLi18EEEES14_S15_S17_S16_NSQ_IJLi23ELi24EEEENSQ_IJLi25EEEEEEENSQ_IJLi23ELi25ELi24EEEElEENS8_INS1_IJSO_SM_SM_SO_SD_EEENS1_IJSR_SS_ST_SV_SU_EEENS1_IJNSQ_IJLi1ELi2EEEESU_SV_NSQ_IJLi5ELi6EEEESY_EEENSQ_IJLi5ELi7ELi6EEEElEENS8_INS1_IJSH_SM_SM_EEENS1_IJSR_SS_ST_EEENS1_IJS1M_SU_SV_EEENSQ_IJLi3ELi4EEEElEELi128ELi128ELi16ELi1ELi4ELi4ELi1ENSQ_IJLi8ELi2EEEES1W_NSQ_IJLi8ELi1ELi1ELi1EEEENSQ_IJLi2ELi1ELi128ELi1EEEENSQ_IJLi1ELi2ELi0ELi3EEEES1Z_NSQ_IJLi4ELi1ELi1ELi1EEEES1Z_NSQ_IJLi1ELi1ELi1ELi1EEEES1X_S1Y_S1Z_S1Z_S20_S1Z_S21_NSQ_IJLi0ELi1ELi2ELi3ELi4ELi5EEEELi5ELi4EE3RunINS1_IJNS8_INS1_IJSH_SM_SM_NSN_INS1_IJiNS_17integral_constantIiLi2EEENS25_IiLi64EEEEEELb0EEES29_EEENS1_IJSR_SS_ST_SU_SV_EEENS1_IJS1M_SU_SV_NSQ_IJLi5ELi6ELi7EEEENSQ_IJLi8ELi9ELi10EEEEEEENSQ_IJLi5ELi6ELi7ELi8ELi9ELi10EEEElEEEEELb1ELb1ENS_31BlockToCTileMap_M00_N00_M01_N01ILi128ELi128ES1V_Lb0EEEEEvPKfS2L_NS1_IJS2L_EEEPfPvRKS5_S2Q_RKS6_RKNS8_INS1_IJSB_SD_SF_SF_SF_SD_SD_SH_SH_SH_SD_SK_SK_SM_SM_SO_SD_SD_NSN_INS1_IJiNS25_IiLi128EEEEEELb0EEENSC_INS25_IiLi1EEEEEEEENS1_IJSR_SS_ST_SU_SV_SW_SX_SY_SZ_S10_S11_S12_S13_S14_S15_S16_S17_NSQ_IJLi23EEEES1G_NSQ_IJLi24EEEEEEENS1_IJS19_SX_SY_SZ_S10_S11_S1A_S1B_S1C_S1D_S1E_S14_S15_S17_S16_S1F_S1G_NSQ_IJLi26EEEENSQ_IJLi27ELi28EEEENSQ_IJLi29EEEEEEENSQ_IJLi26ELi27ELi28ELi29EEEElEERKNS8_INS1_IJSO_SM_SM_SO_SD_SD_S2V_S2X_EEENS1_IJSR_SS_ST_SV_SU_SW_SY_SX_EEENS1_IJS1M_SU_SV_S1N_SY_SZ_NSQ_IJLi9ELi10EEEES1A_EEENSQ_IJLi8ELi9ELi10ELi11EEEElEERKT_RKS2G_RKT2_NS25_IbXT0_EEENS25_IbXT1_EEE
; %bb.0:
	s_waitcnt vmcnt(0) expcnt(0) lgkmcnt(0)
	v_dual_mov_b32 v21, v5 :: v_dual_mov_b32 v20, v4
	v_dual_mov_b32 v23, v1 :: v_dual_mov_b32 v22, v0
	s_clause 0x2
	flat_load_b128 v[67:70], v[16:17] offset:68
	flat_load_b128 v[96:99], v[16:17] offset:88
	;; [unrolled: 1-line block ×3, first 2 shown]
	flat_load_b32 v82, v[8:9] offset:276
	flat_load_b32 v1, v[16:17] offset:20
	s_clause 0x3
	flat_load_b96 v[48:50], v[8:9] offset:212
	flat_load_b96 v[51:53], v[8:9] offset:228
	;; [unrolled: 1-line block ×4, first 2 shown]
	flat_load_b32 v71, v[10:11] offset:48
	s_clause 0x9
	flat_load_b32 v30, v[8:9] offset:76
	flat_load_b128 v[26:29], v[8:9] offset:60
	flat_load_b128 v[32:35], v[8:9] offset:44
	flat_load_b96 v[64:66], v[8:9] offset:196
	flat_load_b32 v36, v[8:9] offset:312
	flat_load_b32 v83, v[8:9] offset:260
	flat_load_b96 v[144:146], v[8:9] offset:144
	flat_load_b64 v[54:55], v[8:9] offset:128
	flat_load_b64 v[4:5], v[8:9] offset:112
	;; [unrolled: 1-line block ×3, first 2 shown]
	flat_load_b32 v37, v[16:17] offset:36
	s_clause 0x1
	flat_load_b32 v84, v[8:9] offset:36
	flat_load_b128 v[16:19], v[8:9] offset:20
	s_clause 0x1
	flat_load_b32 v81, v[10:11] offset:88
	flat_load_b32 v112, v[10:11] offset:8
	;; [unrolled: 1-line block ×3, first 2 shown]
	flat_load_b64 v[116:117], v[14:15] offset:72
	v_and_b32_e32 v31, 0x3ff, v31
	s_mov_b32 s10, 0
	s_mov_b32 s3, exec_lo
	s_delay_alu instid0(VALU_DEP_1) | instskip(SKIP_1) | instid1(VALU_DEP_2)
	v_lshlrev_b32_e32 v24, 3, v31
	v_lshrrev_b32_e32 v80, 1, v31
	v_and_b32_e32 v113, 8, v24
	s_waitcnt vmcnt(26) lgkmcnt(26)
	v_mul_hi_u32 v0, v70, s12
	s_delay_alu instid0(VALU_DEP_1) | instskip(SKIP_2) | instid1(VALU_DEP_2)
	v_add_nc_u32_e32 v0, s12, v0
	s_waitcnt vmcnt(14) lgkmcnt(14)
	v_sub_nc_u32_e32 v87, v32, v34
	v_lshrrev_b32_e32 v99, v99, v0
	s_delay_alu instid0(VALU_DEP_1) | instskip(SKIP_1) | instid1(VALU_DEP_1)
	v_mul_hi_u32 v0, v99, v69
	v_lshlrev_b32_e32 v69, 1, v31
	v_and_b32_e32 v70, 0x1f8, v69
	s_delay_alu instid0(VALU_DEP_3) | instskip(NEXT) | instid1(VALU_DEP_1)
	v_add_nc_u32_e32 v0, v99, v0
	v_lshrrev_b32_e32 v115, v98, v0
	s_delay_alu instid0(VALU_DEP_1) | instskip(SKIP_1) | instid1(VALU_DEP_2)
	v_mul_hi_u32 v0, v115, v68
	v_mul_lo_u32 v25, v115, v102
	v_add_nc_u32_e32 v0, v115, v0
	s_delay_alu instid0(VALU_DEP_1) | instskip(SKIP_1) | instid1(VALU_DEP_2)
	v_lshrrev_b32_e32 v68, v97, v0
	v_mul_lo_u32 v97, v82, v113
	v_mul_hi_u32 v0, v68, v67
	s_waitcnt vmcnt(11) lgkmcnt(11)
	s_delay_alu instid0(VALU_DEP_2) | instskip(NEXT) | instid1(VALU_DEP_2)
	v_cmp_lt_i32_e32 vcc_lo, v97, v83
	v_add_nc_u32_e32 v0, v68, v0
	s_delay_alu instid0(VALU_DEP_1) | instskip(NEXT) | instid1(VALU_DEP_1)
	v_lshrrev_b32_e32 v0, v96, v0
	v_mul_lo_u32 v67, v0, v100
	v_sub_nc_u32_e32 v0, v99, v25
	s_delay_alu instid0(VALU_DEP_2) | instskip(NEXT) | instid1(VALU_DEP_1)
	v_sub_nc_u32_e32 v67, v68, v67
	v_mad_u64_u32 v[24:25], null, v67, v1, v[0:1]
	v_mul_hi_u32 v0, v97, v50
	v_lshrrev_b32_e32 v67, 5, v31
	v_lshlrev_b32_e32 v31, 2, v31
	s_delay_alu instid0(VALU_DEP_4) | instskip(NEXT) | instid1(VALU_DEP_4)
	v_readfirstlane_b32 s8, v24
	v_add_nc_u32_e32 v0, v97, v0
	s_delay_alu instid0(VALU_DEP_2) | instskip(NEXT) | instid1(VALU_DEP_2)
	v_lshl_or_b32 v1, s8, 7, v80
	v_lshrrev_b32_e32 v24, v53, v0
	s_delay_alu instid0(VALU_DEP_2) | instskip(NEXT) | instid1(VALU_DEP_2)
	v_mul_hi_u32 v0, v130, v1
	v_mul_hi_u32 v25, v24, v49
	v_mul_lo_u32 v32, v24, v66
	s_delay_alu instid0(VALU_DEP_3) | instskip(NEXT) | instid1(VALU_DEP_3)
	v_add_nc_u32_e32 v0, v1, v0
	v_add_nc_u32_e32 v25, v24, v25
	s_delay_alu instid0(VALU_DEP_3) | instskip(NEXT) | instid1(VALU_DEP_3)
	v_sub_nc_u32_e32 v97, v97, v32
	v_lshrrev_b32_e32 v100, v133, v0
	v_lshlrev_b32_e32 v0, 6, v67
	s_delay_alu instid0(VALU_DEP_4) | instskip(SKIP_1) | instid1(VALU_DEP_4)
	v_lshrrev_b32_e32 v102, v52, v25
	v_and_b32_e32 v25, 0x1fc, v69
	v_mul_hi_u32 v85, v100, v129
	s_delay_alu instid0(VALU_DEP_4) | instskip(NEXT) | instid1(VALU_DEP_4)
	v_sub_nc_u32_e32 v0, v70, v0
	v_mul_hi_u32 v86, v102, v48
	s_delay_alu instid0(VALU_DEP_4)
	v_sub_nc_u32_e32 v25, v25, v70
	s_waitcnt vmcnt(10) lgkmcnt(10)
	v_mul_lo_u32 v34, v100, v146
	v_and_or_b32 v69, v31, 4, v0
	v_mul_lo_u32 v0, v71, v113
	v_add_nc_u32_e32 v31, v100, v85
	v_lshl_add_u32 v70, v67, 3, v25
	v_add_nc_u32_e32 v25, v102, v86
	v_sub_nc_u32_e32 v86, v28, v30
	v_sub_nc_u32_e32 v85, v35, v27
	v_lshrrev_b32_e32 v28, v132, v31
	v_mul_lo_u32 v27, v102, v65
	v_lshrrev_b32_e32 v96, v51, v25
	v_mul_lo_u32 v30, v99, v103
	s_delay_alu instid0(VALU_DEP_4) | instskip(NEXT) | instid1(VALU_DEP_3)
	v_mul_hi_u32 v25, v28, v128
	v_mul_lo_u32 v31, v96, v64
	v_sub_nc_u32_e32 v98, v24, v27
	v_mul_lo_u32 v27, v68, v101
	v_sub_nc_u32_e32 v24, s12, v30
	v_mul_lo_u32 v30, v28, v145
	v_add_nc_u32_e32 v35, v28, v25
	s_waitcnt vmcnt(9) lgkmcnt(9)
	v_mul_lo_u32 v25, v54, v98
	v_sub_nc_u32_e32 v99, v102, v31
	v_sub_nc_u32_e32 v31, v1, v34
	v_lshrrev_b32_e32 v101, v131, v35
	v_sub_nc_u32_e32 v32, v115, v27
	s_waitcnt vmcnt(8) lgkmcnt(8)
	v_mul_lo_u32 v27, v99, v4
	v_mad_u64_u32 v[67:68], null, v55, v31, v[25:26]
	v_mul_lo_u32 v102, v101, v144
	v_sub_nc_u32_e32 v55, v100, v30
	s_waitcnt vmcnt(7) lgkmcnt(7)
	v_mul_lo_u32 v25, v38, v96
	s_waitcnt vmcnt(4) lgkmcnt(4)
	v_mul_lo_u32 v16, v101, v16
	v_mad_u64_u32 v[30:31], null, v55, v5, v[27:28]
	v_sub_nc_u32_e32 v5, v28, v102
	v_cmp_ge_i32_e64 s0, v67, v29
	v_mad_u64_u32 v[34:35], null, v32, v37, v[24:25]
	v_sub_nc_u32_e32 v24, v67, v29
	s_delay_alu instid0(VALU_DEP_4) | instskip(SKIP_2) | instid1(VALU_DEP_4)
	v_mad_u64_u32 v[31:32], null, v5, v39, v[25:26]
	v_sub_nc_u32_e32 v25, v30, v26
	v_mul_lo_u32 v5, v84, v97
	v_mul_lo_u32 v24, v24, v19
	v_cmp_gt_i32_e64 s1, v86, v67
	v_readfirstlane_b32 s9, v34
	v_mul_lo_u32 v25, v25, v18
	v_sub_nc_u32_e32 v27, v31, v33
	s_delay_alu instid0(VALU_DEP_4) | instskip(SKIP_2) | instid1(VALU_DEP_3)
	s_and_b32 s2, s0, s1
	v_cmp_ge_i32_e64 s0, v30, v26
	v_cmp_gt_i32_e64 s1, v85, v30
	v_mul_lo_u32 v32, v27, v17
	v_lshl_or_b32 v197, s9, 7, v80
	v_add3_u32 v5, v5, v24, v25
	v_mov_b32_e32 v25, 0x31004000
	s_and_b32 s2, vcc_lo, s2
	s_and_b32 s1, s0, s1
	v_cmp_ge_i32_e32 vcc_lo, v31, v33
	v_cmp_gt_i32_e64 s0, v87, v31
	v_add3_u32 v5, v5, v16, v32
	s_waitcnt vmcnt(2) lgkmcnt(2)
	v_mad_u64_u32 v[27:28], null, v112, v197, v[0:1]
	s_and_b32 s1, s2, s1
	s_and_b32 s0, vcc_lo, s0
	s_waitcnt vmcnt(1) lgkmcnt(1)
	v_cmp_lt_i32_e32 vcc_lo, v1, v114
	v_lshlrev_b32_e32 v24, 2, v36
	v_lshlrev_b32_e32 v16, 2, v5
	s_and_b32 s0, s1, s0
	s_delay_alu instid0(SALU_CYCLE_1)
	s_and_b32 s0, vcc_lo, s0
.LBB13_1:                               ; =>This Inner Loop Header: Depth=1
	v_readfirstlane_b32 s4, v22
	v_readfirstlane_b32 s5, v23
	;; [unrolled: 1-line block ×4, first 2 shown]
	s_delay_alu instid0(VALU_DEP_3) | instskip(NEXT) | instid1(VALU_DEP_2)
	v_cmp_eq_u64_e64 s1, s[4:5], v[22:23]
	v_cmp_eq_u64_e64 s2, s[6:7], v[24:25]
	s_delay_alu instid0(VALU_DEP_1) | instskip(NEXT) | instid1(SALU_CYCLE_1)
	s_and_b32 s1, s1, s2
	s_and_saveexec_b32 s1, s1
	buffer_load_b128 v[34:37], v16, s[4:7], 0 offen
                                        ; implicit-def: $vgpr16
	s_xor_b32 exec_lo, exec_lo, s1
	s_cbranch_execnz .LBB13_1
; %bb.2:
	s_mov_b32 exec_lo, s3
	v_or_b32_e32 v16, 4, v113
	s_delay_alu instid0(VALU_DEP_1) | instskip(NEXT) | instid1(VALU_DEP_1)
	v_mul_lo_u32 v211, v82, v16
	v_mul_hi_u32 v16, v50, v211
	s_delay_alu instid0(VALU_DEP_1) | instskip(NEXT) | instid1(VALU_DEP_1)
	v_add_nc_u32_e32 v16, v211, v16
	v_lshrrev_b32_e32 v16, v53, v16
	s_delay_alu instid0(VALU_DEP_1) | instskip(NEXT) | instid1(VALU_DEP_1)
	v_mul_hi_u32 v28, v16, v49
	v_add_nc_u32_e32 v28, v16, v28
	s_delay_alu instid0(VALU_DEP_1) | instskip(NEXT) | instid1(VALU_DEP_1)
	v_lshrrev_b32_e32 v28, v52, v28
	v_mul_hi_u32 v32, v28, v48
	s_delay_alu instid0(VALU_DEP_1) | instskip(NEXT) | instid1(VALU_DEP_1)
	v_add_nc_u32_e32 v32, v28, v32
	v_lshrrev_b32_e32 v199, v51, v32
	v_mul_lo_u32 v32, v28, v65
	s_delay_alu instid0(VALU_DEP_2) | instskip(NEXT) | instid1(VALU_DEP_2)
	v_mul_lo_u32 v39, v199, v64
	v_sub_nc_u32_e32 v209, v16, v32
	v_mul_lo_u32 v16, v16, v66
	s_delay_alu instid0(VALU_DEP_3) | instskip(NEXT) | instid1(VALU_DEP_3)
	v_sub_nc_u32_e32 v208, v28, v39
	v_sub_nc_u32_e32 v32, v209, v98
	;; [unrolled: 1-line block ×3, first 2 shown]
	s_waitcnt vmcnt(0)
	v_cndmask_b32_e64 v28, 0, v37, s0
	v_cndmask_b32_e64 v37, 0, v36, s0
	v_sub_nc_u32_e32 v48, v208, v99
	v_mul_lo_u32 v49, v54, v32
	v_sub_nc_u32_e32 v210, v211, v16
	v_mul_lo_u32 v16, v38, v39
	v_cndmask_b32_e64 v38, 0, v35, s0
	v_mul_lo_u32 v4, v48, v4
	v_cndmask_b32_e64 v48, 0, v34, s0
	v_sub_nc_u32_e32 v35, v210, v97
	v_cmp_lt_i32_e64 s0, v211, v83
	v_mul_lo_u32 v19, v49, v19
	v_add_nc_u32_e32 v32, v67, v49
	v_mul_lo_u32 v17, v16, v17
	v_add_nc_u32_e32 v34, v31, v16
	v_mul_lo_u32 v18, v4, v18
	v_mul_lo_u32 v16, v84, v35
	v_add_nc_u32_e32 v30, v30, v4
	v_cmp_le_i32_e64 s1, v29, v32
	v_cmp_gt_i32_e64 s2, v86, v32
	v_cmp_le_i32_e64 s3, v33, v34
	v_cmp_gt_i32_e64 s6, v87, v34
	v_cmp_le_i32_e64 s4, v26, v30
	v_add3_u32 v4, v18, v19, v17
	v_cmp_gt_i32_e64 s5, v85, v30
	s_and_b32 s1, s1, s2
	s_and_b32 s2, s3, s6
	;; [unrolled: 1-line block ×3, first 2 shown]
	v_add3_u32 v31, v4, v16, v5
	s_and_b32 s1, s4, s5
	s_delay_alu instid0(SALU_CYCLE_1) | instskip(NEXT) | instid1(SALU_CYCLE_1)
	s_and_b32 s0, s0, s1
	s_and_b32 s0, s0, s2
	s_delay_alu instid0(VALU_DEP_1)
	v_lshlrev_b32_e32 v4, 2, v31
	s_and_b32 vcc_lo, vcc_lo, s0
	s_mov_b32 s2, exec_lo
.LBB13_3:                               ; =>This Inner Loop Header: Depth=1
	v_readfirstlane_b32 s4, v22
	v_readfirstlane_b32 s5, v23
	;; [unrolled: 1-line block ×4, first 2 shown]
	s_delay_alu instid0(VALU_DEP_3) | instskip(NEXT) | instid1(VALU_DEP_2)
	v_cmp_eq_u64_e64 s0, s[4:5], v[22:23]
	v_cmp_eq_u64_e64 s1, s[6:7], v[24:25]
	s_delay_alu instid0(VALU_DEP_1) | instskip(NEXT) | instid1(SALU_CYCLE_1)
	s_and_b32 s0, s0, s1
	s_and_saveexec_b32 s0, s0
	buffer_load_b128 v[16:19], v4, s[4:7], 0 offen
                                        ; implicit-def: $vgpr4
	s_xor_b32 exec_lo, exec_lo, s0
	s_cbranch_execnz .LBB13_3
; %bb.4:
	s_mov_b32 exec_lo, s2
	s_clause 0x1
	flat_load_b32 v36, v[10:11] offset:32
	flat_load_b32 v4, v[10:11] offset:20
	s_waitcnt vmcnt(2)
	v_dual_cndmask_b32 v26, 0, v19 :: v_dual_cndmask_b32 v29, 0, v18
	v_dual_cndmask_b32 v49, 0, v17 :: v_dual_cndmask_b32 v50, 0, v16
	v_lshlrev_b32_e32 v33, 2, v27
	s_mov_b32 s3, exec_lo
	v_mov_b32_e32 v5, 0x31004000
	s_waitcnt vmcnt(1) lgkmcnt(1)
	v_cmp_gt_i32_e64 s0, v36, v0
	s_waitcnt vmcnt(0) lgkmcnt(0)
	v_cmp_gt_i32_e32 vcc_lo, v4, v197
	v_lshlrev_b32_e32 v4, 2, v81
	s_delay_alu instid0(VALU_DEP_3)
	s_and_b32 s0, vcc_lo, s0
.LBB13_5:                               ; =>This Inner Loop Header: Depth=1
	v_readfirstlane_b32 s4, v2
	v_readfirstlane_b32 s5, v3
	s_delay_alu instid0(VALU_DEP_3) | instskip(SKIP_1) | instid1(VALU_DEP_3)
	v_readfirstlane_b32 s6, v4
	v_readfirstlane_b32 s7, v5
	v_cmp_eq_u64_e64 s1, s[4:5], v[2:3]
	s_delay_alu instid0(VALU_DEP_2) | instskip(NEXT) | instid1(VALU_DEP_1)
	v_cmp_eq_u64_e64 s2, s[6:7], v[4:5]
	s_and_b32 s1, s1, s2
	s_delay_alu instid0(SALU_CYCLE_1)
	s_and_saveexec_b32 s1, s1
	buffer_load_b128 v[16:19], v33, s[4:7], 0 offen
                                        ; implicit-def: $vgpr33
	s_xor_b32 exec_lo, exec_lo, s1
	s_cbranch_execnz .LBB13_5
; %bb.6:
	s_mov_b32 exec_lo, s3
	v_lshlrev_b32_e32 v35, 2, v71
	s_waitcnt vmcnt(0)
	v_cndmask_b32_e64 v51, 0, v19, s0
	v_cndmask_b32_e64 v52, 0, v17, s0
	;; [unrolled: 1-line block ×3, first 2 shown]
	s_mov_b32 s2, exec_lo
	v_add_nc_u32_e32 v33, v35, v0
	v_add_nc_u32_e32 v35, v27, v35
	v_cndmask_b32_e64 v27, 0, v18, s0
	s_delay_alu instid0(VALU_DEP_3) | instskip(NEXT) | instid1(VALU_DEP_3)
	v_cmp_gt_i32_e64 s1, v36, v33
	v_lshlrev_b32_e32 v0, 2, v35
	s_delay_alu instid0(VALU_DEP_2)
	s_and_b32 vcc_lo, vcc_lo, s1
.LBB13_7:                               ; =>This Inner Loop Header: Depth=1
	v_readfirstlane_b32 s4, v2
	v_readfirstlane_b32 s5, v3
	;; [unrolled: 1-line block ×4, first 2 shown]
	s_delay_alu instid0(VALU_DEP_3) | instskip(NEXT) | instid1(VALU_DEP_2)
	v_cmp_eq_u64_e64 s0, s[4:5], v[2:3]
	v_cmp_eq_u64_e64 s1, s[6:7], v[4:5]
	s_delay_alu instid0(VALU_DEP_1) | instskip(NEXT) | instid1(SALU_CYCLE_1)
	s_and_b32 s0, s0, s1
	s_and_saveexec_b32 s0, s0
	buffer_load_b128 v[16:19], v0, s[4:7], 0 offen
                                        ; implicit-def: $vgpr0
	s_xor_b32 exec_lo, exec_lo, s0
	s_cbranch_execnz .LBB13_7
; %bb.8:
	s_mov_b32 exec_lo, s2
	flat_load_b32 v128, v[8:9] offset:288
	v_dual_mov_b32 v145, 0 :: v_dual_lshlrev_b32 v0, 2, v80
	s_waitcnt vmcnt(1)
	v_dual_cndmask_b32 v19, 0, v19 :: v_dual_cndmask_b32 v18, 0, v18
	v_dual_mov_b32 v135, 0 :: v_dual_lshlrev_b32 v192, 2, v70
	s_delay_alu instid0(VALU_DEP_3)
	v_lshl_or_b32 v194, v113, 9, v0
	v_dual_mov_b32 v134, 0 :: v_dual_lshlrev_b32 v193, 2, v69
	v_dual_mov_b32 v36, v211 :: v_dual_mov_b32 v83, 0
	v_dual_mov_b32 v144, 0 :: v_dual_mov_b32 v81, 0
	;; [unrolled: 1-line block ×30, first 2 shown]
	v_mov_b32_e32 v117, 0
	v_or_b32_e32 v0, 0x4000, v194
	v_or_b32_e32 v195, 0x2000, v194
	;; [unrolled: 1-line block ×3, first 2 shown]
	v_dual_cndmask_b32 v17, 0, v17 :: v_dual_cndmask_b32 v16, 0, v16
	s_mov_b32 s11, 0
	ds_store_2addr_stride64_b32 v194, v48, v38 offset1:2
	ds_store_2addr_stride64_b32 v194, v37, v28 offset0:4 offset1:6
	ds_store_2addr_stride64_b32 v194, v50, v49 offset0:8 offset1:10
	ds_store_2addr_stride64_b32 v194, v29, v26 offset0:12 offset1:14
	ds_store_2addr_stride64_b32 v194, v53, v52 offset0:64 offset1:66
	ds_store_2addr_stride64_b32 v194, v27, v51 offset0:68 offset1:70
	ds_store_2addr_stride64_b32 v194, v16, v17 offset0:72 offset1:74
	ds_store_2addr_stride64_b32 v194, v18, v19 offset0:76 offset1:78
	s_waitcnt vmcnt(0) lgkmcnt(8)
	v_subrev_nc_u32_e32 v198, 32, v128
	v_mov_b32_e32 v128, 0
.LBB13_9:                               ; =>This Loop Header: Depth=1
                                        ;     Child Loop BB13_10 Depth 2
                                        ;     Child Loop BB13_12 Depth 2
	;; [unrolled: 1-line block ×8, first 2 shown]
	flat_load_b32 v226, v[8:9] offset:276
	s_mov_b32 s3, exec_lo
	s_waitcnt vmcnt(0) lgkmcnt(0)
	v_mul_lo_u32 v16, v226, 12
	s_delay_alu instid0(VALU_DEP_1)
	v_add_nc_u32_e32 v212, v16, v36
	s_clause 0x5
	flat_load_b96 v[48:50], v[8:9] offset:212
	flat_load_b96 v[36:38], v[8:9] offset:228
	;; [unrolled: 1-line block ×3, first 2 shown]
	flat_load_b32 v240, v[8:9] offset:128
	flat_load_b32 v228, v[8:9] offset:112
	;; [unrolled: 1-line block ×3, first 2 shown]
	v_add_nc_u32_e32 v227, v16, v211
	flat_load_b32 v242, v[8:9] offset:260
	s_waitcnt vmcnt(6) lgkmcnt(6)
	v_mul_hi_u32 v16, v227, v50
	s_waitcnt vmcnt(0) lgkmcnt(0)
	v_cmp_lt_i32_e64 s0, v212, v242
	s_delay_alu instid0(VALU_DEP_2) | instskip(NEXT) | instid1(VALU_DEP_1)
	v_add_nc_u32_e32 v16, v227, v16
	v_lshrrev_b32_e32 v16, v38, v16
	s_delay_alu instid0(VALU_DEP_1) | instskip(NEXT) | instid1(VALU_DEP_1)
	v_mul_lo_u32 v17, v16, v53
	v_sub_nc_u32_e32 v214, v227, v17
	v_mul_hi_u32 v17, v16, v49
	s_delay_alu instid0(VALU_DEP_2) | instskip(NEXT) | instid1(VALU_DEP_2)
	v_sub_nc_u32_e32 v26, v214, v210
	v_add_nc_u32_e32 v17, v16, v17
	s_delay_alu instid0(VALU_DEP_1) | instskip(NEXT) | instid1(VALU_DEP_1)
	v_lshrrev_b32_e32 v17, v37, v17
	v_mul_lo_u32 v18, v17, v52
	s_delay_alu instid0(VALU_DEP_1) | instskip(SKIP_1) | instid1(VALU_DEP_2)
	v_sub_nc_u32_e32 v230, v16, v18
	v_mul_hi_u32 v18, v17, v48
	v_sub_nc_u32_e32 v16, v230, v209
	flat_load_b32 v209, v[10:11] offset:48
	v_add_nc_u32_e32 v18, v17, v18
	v_mul_lo_u32 v27, v16, v240
	s_delay_alu instid0(VALU_DEP_2) | instskip(NEXT) | instid1(VALU_DEP_2)
	v_lshrrev_b32_e32 v231, v36, v18
	v_add_nc_u32_e32 v215, v27, v32
	s_delay_alu instid0(VALU_DEP_2) | instskip(NEXT) | instid1(VALU_DEP_1)
	v_mul_lo_u32 v18, v231, v51
	v_sub_nc_u32_e32 v229, v17, v18
	v_sub_nc_u32_e32 v18, v231, v199
	s_delay_alu instid0(VALU_DEP_2) | instskip(NEXT) | instid1(VALU_DEP_2)
	v_sub_nc_u32_e32 v17, v229, v208
	v_mul_lo_u32 v29, v18, v241
	s_delay_alu instid0(VALU_DEP_2)
	v_mul_lo_u32 v28, v17, v228
	flat_load_b128 v[16:19], v[8:9] offset:24
	v_add_nc_u32_e32 v224, v29, v34
	v_add_nc_u32_e32 v213, v28, v30
	s_waitcnt vmcnt(0) lgkmcnt(0)
	v_mul_lo_u32 v27, v27, v18
	v_mul_lo_u32 v26, v19, v26
	;; [unrolled: 1-line block ×4, first 2 shown]
	s_delay_alu instid0(VALU_DEP_3) | instskip(NEXT) | instid1(VALU_DEP_1)
	v_add3_u32 v26, v26, v31, v27
	v_add3_u32 v225, v26, v29, v28
	v_mul_lo_u32 v26, v209, 12
	s_delay_alu instid0(VALU_DEP_1)
	v_add_nc_u32_e32 v211, v26, v33
	v_add_nc_u32_e32 v210, v26, v35
	flat_load_b32 v26, v[8:9] offset:248
	s_waitcnt vmcnt(0) lgkmcnt(0)
	v_cmp_lt_i32_e32 vcc_lo, v1, v26
	s_clause 0x1
	flat_load_b128 v[26:29], v[8:9] offset:60
	flat_load_b32 v30, v[8:9] offset:76
	s_waitcnt vmcnt(1) lgkmcnt(1)
	v_cmp_le_i32_e64 s1, v29, v215
	s_waitcnt vmcnt(0) lgkmcnt(0)
	v_sub_nc_u32_e32 v243, v28, v30
	flat_load_b128 v[30:33], v[8:9] offset:44
	v_cmp_gt_i32_e64 s2, v243, v215
	s_delay_alu instid0(VALU_DEP_1) | instskip(NEXT) | instid1(SALU_CYCLE_1)
	s_and_b32 s1, s1, s2
	s_and_b32 s2, s0, s1
	v_cmp_le_i32_e64 s0, v26, v213
	s_waitcnt vmcnt(0) lgkmcnt(0)
	v_sub_nc_u32_e32 v244, v33, v27
	v_sub_nc_u32_e32 v245, v30, v32
	v_lshlrev_b32_e32 v27, 2, v225
	s_delay_alu instid0(VALU_DEP_3) | instskip(NEXT) | instid1(VALU_DEP_1)
	v_cmp_gt_i32_e64 s1, v244, v213
	s_and_b32 s0, s0, s1
	s_delay_alu instid0(VALU_DEP_3) | instskip(SKIP_2) | instid1(VALU_DEP_1)
	v_cmp_gt_i32_e64 s1, v245, v224
	s_and_b32 s2, s2, s0
	v_cmp_le_i32_e64 s0, v31, v224
	s_and_b32 s0, s0, s1
	s_delay_alu instid0(SALU_CYCLE_1) | instskip(NEXT) | instid1(SALU_CYCLE_1)
	s_and_b32 s0, s2, s0
	s_and_b32 s0, vcc_lo, s0
.LBB13_10:                              ;   Parent Loop BB13_9 Depth=1
                                        ; =>  This Inner Loop Header: Depth=2
	v_readfirstlane_b32 s4, v22
	v_readfirstlane_b32 s5, v23
	v_readfirstlane_b32 s6, v24
	v_readfirstlane_b32 s7, v25
	s_delay_alu instid0(VALU_DEP_3) | instskip(NEXT) | instid1(VALU_DEP_2)
	v_cmp_eq_u64_e64 s1, s[4:5], v[22:23]
	v_cmp_eq_u64_e64 s2, s[6:7], v[24:25]
	s_delay_alu instid0(VALU_DEP_1) | instskip(NEXT) | instid1(SALU_CYCLE_1)
	s_and_b32 s1, s1, s2
	s_and_saveexec_b32 s1, s1
	buffer_load_b128 v[32:35], v27, s[4:7], 0 offen
                                        ; implicit-def: $vgpr27
	s_xor_b32 exec_lo, exec_lo, s1
	s_cbranch_execnz .LBB13_10
; %bb.11:                               ;   in Loop: Header=BB13_9 Depth=1
	s_mov_b32 exec_lo, s3
	v_lshlrev_b32_e32 v28, 2, v226
	s_waitcnt vmcnt(0)
	v_cndmask_b32_e64 v35, 0, v35, s0
	s_delay_alu instid0(VALU_DEP_2) | instskip(NEXT) | instid1(VALU_DEP_1)
	v_add_nc_u32_e32 v208, v28, v227
	v_mul_hi_u32 v27, v208, v50
	s_delay_alu instid0(VALU_DEP_1) | instskip(NEXT) | instid1(VALU_DEP_1)
	v_add_nc_u32_e32 v27, v208, v27
	v_lshrrev_b32_e32 v30, v38, v27
	s_delay_alu instid0(VALU_DEP_1) | instskip(SKIP_1) | instid1(VALU_DEP_2)
	v_mul_hi_u32 v27, v30, v49
	v_mul_lo_u32 v49, v30, v53
	v_add_nc_u32_e32 v27, v30, v27
	s_delay_alu instid0(VALU_DEP_1) | instskip(NEXT) | instid1(VALU_DEP_1)
	v_lshrrev_b32_e32 v37, v37, v27
	v_mul_hi_u32 v27, v37, v48
	v_mul_lo_u32 v38, v37, v52
	s_delay_alu instid0(VALU_DEP_2) | instskip(NEXT) | instid1(VALU_DEP_2)
	v_add_nc_u32_e32 v27, v37, v27
	v_sub_nc_u32_e32 v199, v30, v38
	s_delay_alu instid0(VALU_DEP_2) | instskip(NEXT) | instid1(VALU_DEP_2)
	v_lshrrev_b32_e32 v27, v36, v27
	v_sub_nc_u32_e32 v38, v199, v230
	v_cndmask_b32_e64 v36, 0, v34, s0
	v_sub_nc_u32_e32 v34, v208, v49
	s_delay_alu instid0(VALU_DEP_4) | instskip(NEXT) | instid1(VALU_DEP_4)
	v_mul_lo_u32 v48, v27, v51
	v_mul_lo_u32 v49, v38, v240
	v_cndmask_b32_e64 v38, 0, v32, s0
	s_delay_alu instid0(VALU_DEP_4) | instskip(NEXT) | instid1(VALU_DEP_1)
	v_sub_nc_u32_e32 v51, v34, v214
	v_mul_lo_u32 v19, v19, v51
	v_sub_nc_u32_e32 v30, v37, v48
	v_sub_nc_u32_e32 v48, v27, v231
	v_add_nc_u32_e32 v32, v49, v215
	v_mul_lo_u32 v18, v49, v18
	v_cndmask_b32_e64 v37, 0, v33, s0
	v_sub_nc_u32_e32 v50, v30, v229
	v_mul_lo_u32 v48, v48, v241
	v_add_nc_u32_e32 v33, v28, v212
	v_cmp_le_i32_e64 s1, v29, v32
	v_cmp_gt_i32_e64 s2, v243, v32
	v_mul_lo_u32 v50, v50, v228
	v_add3_u32 v18, v19, v225, v18
	v_cmp_lt_i32_e64 s0, v33, v242
	v_mul_lo_u32 v16, v48, v16
	v_add_nc_u32_e32 v28, v48, v224
	s_and_b32 s1, s1, s2
	v_add_nc_u32_e32 v29, v50, v213
	v_mul_lo_u32 v17, v50, v17
	s_delay_alu instid0(VALU_DEP_3) | instskip(SKIP_4) | instid1(VALU_DEP_3)
	v_cmp_le_i32_e64 s3, v31, v28
	v_cmp_gt_i32_e64 s6, v245, v28
	s_and_b32 s0, s0, s1
	v_cmp_le_i32_e64 s4, v26, v29
	v_cmp_gt_i32_e64 s5, v244, v29
	s_and_b32 s2, s3, s6
	v_add3_u32 v26, v18, v16, v17
	s_delay_alu instid0(VALU_DEP_2) | instskip(NEXT) | instid1(SALU_CYCLE_1)
	s_and_b32 s1, s4, s5
	s_and_b32 s0, s0, s1
	s_delay_alu instid0(VALU_DEP_1)
	v_lshlrev_b32_e32 v31, 2, v26
	s_and_b32 s0, s2, s0
	s_mov_b32 s2, exec_lo
	s_and_b32 s0, vcc_lo, s0
.LBB13_12:                              ;   Parent Loop BB13_9 Depth=1
                                        ; =>  This Inner Loop Header: Depth=2
	v_readfirstlane_b32 s4, v22
	v_readfirstlane_b32 s5, v23
	;; [unrolled: 1-line block ×4, first 2 shown]
	s_delay_alu instid0(VALU_DEP_3) | instskip(NEXT) | instid1(VALU_DEP_2)
	v_cmp_eq_u64_e32 vcc_lo, s[4:5], v[22:23]
	v_cmp_eq_u64_e64 s1, s[6:7], v[24:25]
	s_delay_alu instid0(VALU_DEP_1) | instskip(NEXT) | instid1(SALU_CYCLE_1)
	s_and_b32 s1, vcc_lo, s1
	s_and_saveexec_b32 s1, s1
	buffer_load_b128 v[16:19], v31, s[4:7], 0 offen
                                        ; implicit-def: $vgpr31
	s_xor_b32 exec_lo, exec_lo, s1
	s_cbranch_execnz .LBB13_12
; %bb.13:                               ;   in Loop: Header=BB13_9 Depth=1
	s_mov_b32 exec_lo, s2
	s_clause 0x1
	flat_load_b32 v212, v[10:11] offset:32
	flat_load_b32 v31, v[10:11] offset:20
	s_waitcnt vmcnt(2)
	v_cndmask_b32_e64 v48, 0, v19, s0
	v_cndmask_b32_e64 v49, 0, v18, s0
	;; [unrolled: 1-line block ×4, first 2 shown]
	s_mov_b32 s3, exec_lo
	s_waitcnt vmcnt(1) lgkmcnt(1)
	v_cmp_gt_i32_e64 s1, v212, v211
	s_waitcnt vmcnt(0) lgkmcnt(0)
	v_cmp_gt_i32_e32 vcc_lo, v31, v197
	v_lshlrev_b32_e32 v31, 2, v210
	s_delay_alu instid0(VALU_DEP_3)
	s_and_b32 s0, vcc_lo, s1
.LBB13_14:                              ;   Parent Loop BB13_9 Depth=1
                                        ; =>  This Inner Loop Header: Depth=2
	v_readfirstlane_b32 s4, v2
	v_readfirstlane_b32 s5, v3
	;; [unrolled: 1-line block ×4, first 2 shown]
	s_delay_alu instid0(VALU_DEP_3) | instskip(NEXT) | instid1(VALU_DEP_2)
	v_cmp_eq_u64_e64 s1, s[4:5], v[2:3]
	v_cmp_eq_u64_e64 s2, s[6:7], v[4:5]
	s_delay_alu instid0(VALU_DEP_1) | instskip(NEXT) | instid1(SALU_CYCLE_1)
	s_and_b32 s1, s1, s2
	s_and_saveexec_b32 s1, s1
	buffer_load_b128 v[16:19], v31, s[4:7], 0 offen
                                        ; implicit-def: $vgpr31
	s_xor_b32 exec_lo, exec_lo, s1
	s_cbranch_execnz .LBB13_14
; %bb.15:                               ;   in Loop: Header=BB13_9 Depth=1
	s_mov_b32 exec_lo, s3
	v_lshlrev_b32_e32 v53, 2, v209
	s_waitcnt vmcnt(0)
	v_cndmask_b32_e64 v52, 0, v19, s0
	s_mov_b32 s2, exec_lo
	s_delay_alu instid0(VALU_DEP_2)
	v_add_nc_u32_e32 v31, v53, v211
	v_add_nc_u32_e32 v209, v53, v210
	v_cndmask_b32_e64 v53, 0, v18, s0
	v_cndmask_b32_e64 v210, 0, v17, s0
	;; [unrolled: 1-line block ×3, first 2 shown]
	v_cmp_gt_i32_e64 s1, v212, v31
	v_lshlrev_b32_e32 v212, 2, v209
	s_delay_alu instid0(VALU_DEP_2)
	s_and_b32 vcc_lo, vcc_lo, s1
.LBB13_16:                              ;   Parent Loop BB13_9 Depth=1
                                        ; =>  This Inner Loop Header: Depth=2
	v_readfirstlane_b32 s4, v2
	v_readfirstlane_b32 s5, v3
	;; [unrolled: 1-line block ×4, first 2 shown]
	s_delay_alu instid0(VALU_DEP_3) | instskip(NEXT) | instid1(VALU_DEP_2)
	v_cmp_eq_u64_e64 s0, s[4:5], v[2:3]
	v_cmp_eq_u64_e64 s1, s[6:7], v[4:5]
	s_delay_alu instid0(VALU_DEP_1) | instskip(NEXT) | instid1(SALU_CYCLE_1)
	s_and_b32 s0, s0, s1
	s_and_saveexec_b32 s0, s0
	buffer_load_b128 v[16:19], v212, s[4:7], 0 offen
                                        ; implicit-def: $vgpr212
	s_xor_b32 exec_lo, exec_lo, s0
	s_cbranch_execnz .LBB13_16
; %bb.17:                               ;   in Loop: Header=BB13_9 Depth=1
	s_mov_b32 exec_lo, s2
	s_waitcnt vmcnt(0) lgkmcnt(0)
	s_waitcnt_vscnt null, 0x0
	s_barrier
	ds_load_b128 v[212:215], v192
	ds_load_b128 v[224:227], v193 offset:16384
	ds_load_b128 v[228:231], v193 offset:16640
	;; [unrolled: 1-line block ×3, first 2 shown]
	v_dual_cndmask_b32 v19, 0, v19 :: v_dual_cndmask_b32 v18, 0, v18
	v_dual_cndmask_b32 v17, 0, v17 :: v_dual_cndmask_b32 v16, 0, v16
	s_mov_b32 s3, exec_lo
	s_waitcnt lgkmcnt(2)
	;;#ASMSTART
	
             v_fmac_f32 v182, v212, v224 
             
	;;#ASMEND
	;;#ASMSTART
	
             v_fmac_f32 v183, v212, v225 
             
	;;#ASMEND
	;; [unrolled: 5-line block ×16, first 2 shown]
	s_waitcnt lgkmcnt(1)
	;;#ASMSTART
	
             v_fmac_f32 v178, v212, v228 
             
	;;#ASMEND
	;;#ASMSTART
	
             v_fmac_f32 v179, v212, v229 
             
	;;#ASMEND
	;; [unrolled: 5-line block ×16, first 2 shown]
	ds_load_b128 v[212:215], v192 offset:512
	s_waitcnt lgkmcnt(1)
	;;#ASMSTART
	
             v_fmac_f32 v134, v240, v224 
             
	;;#ASMEND
	;;#ASMSTART
	
             v_fmac_f32 v145, v240, v225 
             
	;;#ASMEND
	;;#ASMSTART
	
             v_fmac_f32 v144, v240, v226 
             
	;;#ASMEND
	;;#ASMSTART
	
             v_fmac_f32 v135, v240, v227 
             
	;;#ASMEND
	;;#ASMSTART
	
             v_fmac_f32 v130, v241, v224 
             
	;;#ASMEND
	;;#ASMSTART
	
             v_fmac_f32 v129, v241, v225 
             
	;;#ASMEND
	;;#ASMSTART
	
             v_fmac_f32 v55, v241, v226 
             
	;;#ASMEND
	;;#ASMSTART
	
             v_fmac_f32 v54, v241, v227 
             
	;;#ASMEND
	;;#ASMSTART
	
             v_fmac_f32 v99, v242, v224 
             
	;;#ASMEND
	;;#ASMSTART
	
             v_fmac_f32 v98, v242, v225 
             
	;;#ASMEND
	;;#ASMSTART
	
             v_fmac_f32 v97, v242, v226 
             
	;;#ASMEND
	;;#ASMSTART
	
             v_fmac_f32 v96, v242, v227 
             
	;;#ASMEND
	;;#ASMSTART
	
             v_fmac_f32 v115, v243, v224 
             
	;;#ASMEND
	;;#ASMSTART
	
             v_fmac_f32 v114, v243, v225 
             
	;;#ASMEND
	;;#ASMSTART
	
             v_fmac_f32 v112, v243, v226 
             
	;;#ASMEND
	;;#ASMSTART
	
             v_fmac_f32 v113, v243, v227 
             
	;;#ASMEND
	ds_load_b128 v[224:227], v193 offset:16896
	;;#ASMSTART
	
             v_fmac_f32 v132, v240, v228 
             
	;;#ASMEND
	;;#ASMSTART
	
             v_fmac_f32 v133, v240, v229 
             
	;;#ASMEND
	;; [unrolled: 5-line block ×16, first 2 shown]
	ds_load_b128 v[228:231], v193 offset:17152
	ds_load_b128 v[240:243], v192 offset:768
	s_waitcnt lgkmcnt(2)
	;;#ASMSTART
	
             v_fmac_f32 v182, v212, v224 
             
	;;#ASMEND
	;;#ASMSTART
	
             v_fmac_f32 v183, v212, v225 
             
	;;#ASMEND
	;;#ASMSTART
	
             v_fmac_f32 v180, v212, v226 
             
	;;#ASMEND
	;;#ASMSTART
	
             v_fmac_f32 v181, v212, v227 
             
	;;#ASMEND
	;;#ASMSTART
	
             v_fmac_f32 v167, v213, v224 
             
	;;#ASMEND
	;;#ASMSTART
	
             v_fmac_f32 v166, v213, v225 
             
	;;#ASMEND
	;;#ASMSTART
	
             v_fmac_f32 v165, v213, v226 
             
	;;#ASMEND
	;;#ASMSTART
	
             v_fmac_f32 v164, v213, v227 
             
	;;#ASMEND
	;;#ASMSTART
	
             v_fmac_f32 v161, v214, v224 
             
	;;#ASMEND
	;;#ASMSTART
	
             v_fmac_f32 v160, v214, v225 
             
	;;#ASMEND
	;;#ASMSTART
	
             v_fmac_f32 v151, v214, v226 
             
	;;#ASMEND
	;;#ASMSTART
	
             v_fmac_f32 v150, v214, v227 
             
	;;#ASMEND
	;;#ASMSTART
	
             v_fmac_f32 v149, v215, v224 
             
	;;#ASMEND
	;;#ASMSTART
	
             v_fmac_f32 v148, v215, v225 
             
	;;#ASMEND
	;;#ASMSTART
	
             v_fmac_f32 v147, v215, v226 
             
	;;#ASMEND
	;;#ASMSTART
	
             v_fmac_f32 v146, v215, v227 
             
	;;#ASMEND
	s_waitcnt lgkmcnt(1)
	;;#ASMSTART
	
             v_fmac_f32 v178, v212, v228 
             
	;;#ASMEND
	;;#ASMSTART
	
             v_fmac_f32 v179, v212, v229 
             
	;;#ASMEND
	;; [unrolled: 5-line block ×16, first 2 shown]
	ds_load_b128 v[212:215], v192 offset:1024
	s_waitcnt lgkmcnt(1)
	;;#ASMSTART
	
             v_fmac_f32 v134, v240, v224 
             
	;;#ASMEND
	;;#ASMSTART
	
             v_fmac_f32 v145, v240, v225 
             
	;;#ASMEND
	;; [unrolled: 5-line block ×16, first 2 shown]
	ds_load_b128 v[224:227], v193 offset:17408
	;;#ASMSTART
	
             v_fmac_f32 v132, v240, v228 
             
	;;#ASMEND
	;;#ASMSTART
	
             v_fmac_f32 v133, v240, v229 
             
	;;#ASMEND
	;; [unrolled: 5-line block ×16, first 2 shown]
	ds_load_b128 v[228:231], v193 offset:17664
	ds_load_b128 v[240:243], v192 offset:1280
	s_waitcnt lgkmcnt(2)
	;;#ASMSTART
	
             v_fmac_f32 v182, v212, v224 
             
	;;#ASMEND
	;;#ASMSTART
	
             v_fmac_f32 v183, v212, v225 
             
	;;#ASMEND
	;; [unrolled: 5-line block ×16, first 2 shown]
	s_waitcnt lgkmcnt(1)
	;;#ASMSTART
	
             v_fmac_f32 v178, v212, v228 
             
	;;#ASMEND
	;;#ASMSTART
	
             v_fmac_f32 v179, v212, v229 
             
	;;#ASMEND
	;; [unrolled: 5-line block ×16, first 2 shown]
	ds_load_b128 v[212:215], v192 offset:1536
	s_waitcnt lgkmcnt(1)
	;;#ASMSTART
	
             v_fmac_f32 v134, v240, v224 
             
	;;#ASMEND
	;;#ASMSTART
	
             v_fmac_f32 v145, v240, v225 
             
	;;#ASMEND
	;; [unrolled: 5-line block ×16, first 2 shown]
	ds_load_b128 v[224:227], v193 offset:17920
	;;#ASMSTART
	
             v_fmac_f32 v132, v240, v228 
             
	;;#ASMEND
	;;#ASMSTART
	
             v_fmac_f32 v133, v240, v229 
             
	;;#ASMEND
	;; [unrolled: 5-line block ×16, first 2 shown]
	ds_load_b128 v[228:231], v193 offset:18176
	ds_load_b128 v[240:243], v192 offset:1792
	s_waitcnt lgkmcnt(2)
	;;#ASMSTART
	
             v_fmac_f32 v182, v212, v224 
             
	;;#ASMEND
	;;#ASMSTART
	
             v_fmac_f32 v183, v212, v225 
             
	;;#ASMEND
	;; [unrolled: 5-line block ×16, first 2 shown]
	s_waitcnt lgkmcnt(1)
	;;#ASMSTART
	
             v_fmac_f32 v178, v212, v228 
             
	;;#ASMEND
	;;#ASMSTART
	
             v_fmac_f32 v179, v212, v229 
             
	;;#ASMEND
	;; [unrolled: 5-line block ×16, first 2 shown]
	ds_load_b128 v[212:215], v192 offset:2048
	s_waitcnt lgkmcnt(1)
	;;#ASMSTART
	
             v_fmac_f32 v134, v240, v224 
             
	;;#ASMEND
	;;#ASMSTART
	
             v_fmac_f32 v145, v240, v225 
             
	;;#ASMEND
	;; [unrolled: 5-line block ×16, first 2 shown]
	ds_load_b128 v[224:227], v193 offset:18432
	;;#ASMSTART
	
             v_fmac_f32 v132, v240, v228 
             
	;;#ASMEND
	;;#ASMSTART
	
             v_fmac_f32 v133, v240, v229 
             
	;;#ASMEND
	;; [unrolled: 5-line block ×16, first 2 shown]
	ds_load_b128 v[228:231], v193 offset:18688
	ds_load_b128 v[240:243], v192 offset:2304
	s_waitcnt lgkmcnt(2)
	;;#ASMSTART
	
             v_fmac_f32 v182, v212, v224 
             
	;;#ASMEND
	;;#ASMSTART
	
             v_fmac_f32 v183, v212, v225 
             
	;;#ASMEND
	;; [unrolled: 5-line block ×16, first 2 shown]
	s_waitcnt lgkmcnt(1)
	;;#ASMSTART
	
             v_fmac_f32 v178, v212, v228 
             
	;;#ASMEND
	;;#ASMSTART
	
             v_fmac_f32 v179, v212, v229 
             
	;;#ASMEND
	;; [unrolled: 5-line block ×16, first 2 shown]
	ds_load_b128 v[212:215], v192 offset:2560
	s_waitcnt lgkmcnt(1)
	;;#ASMSTART
	
             v_fmac_f32 v134, v240, v224 
             
	;;#ASMEND
	;;#ASMSTART
	
             v_fmac_f32 v145, v240, v225 
             
	;;#ASMEND
	;; [unrolled: 5-line block ×16, first 2 shown]
	ds_load_b128 v[224:227], v193 offset:18944
	;;#ASMSTART
	
             v_fmac_f32 v132, v240, v228 
             
	;;#ASMEND
	;;#ASMSTART
	
             v_fmac_f32 v133, v240, v229 
             
	;;#ASMEND
	;; [unrolled: 5-line block ×16, first 2 shown]
	ds_load_b128 v[228:231], v193 offset:19200
	ds_load_b128 v[240:243], v192 offset:2816
	s_waitcnt lgkmcnt(2)
	;;#ASMSTART
	
             v_fmac_f32 v182, v212, v224 
             
	;;#ASMEND
	;;#ASMSTART
	
             v_fmac_f32 v183, v212, v225 
             
	;;#ASMEND
	;;#ASMSTART
	
             v_fmac_f32 v180, v212, v226 
             
	;;#ASMEND
	;;#ASMSTART
	
             v_fmac_f32 v181, v212, v227 
             
	;;#ASMEND
	;;#ASMSTART
	
             v_fmac_f32 v167, v213, v224 
             
	;;#ASMEND
	;;#ASMSTART
	
             v_fmac_f32 v166, v213, v225 
             
	;;#ASMEND
	;;#ASMSTART
	
             v_fmac_f32 v165, v213, v226 
             
	;;#ASMEND
	;;#ASMSTART
	
             v_fmac_f32 v164, v213, v227 
             
	;;#ASMEND
	;;#ASMSTART
	
             v_fmac_f32 v161, v214, v224 
             
	;;#ASMEND
	;;#ASMSTART
	
             v_fmac_f32 v160, v214, v225 
             
	;;#ASMEND
	;;#ASMSTART
	
             v_fmac_f32 v151, v214, v226 
             
	;;#ASMEND
	;;#ASMSTART
	
             v_fmac_f32 v150, v214, v227 
             
	;;#ASMEND
	;;#ASMSTART
	
             v_fmac_f32 v149, v215, v224 
             
	;;#ASMEND
	;;#ASMSTART
	
             v_fmac_f32 v148, v215, v225 
             
	;;#ASMEND
	;;#ASMSTART
	
             v_fmac_f32 v147, v215, v226 
             
	;;#ASMEND
	;;#ASMSTART
	
             v_fmac_f32 v146, v215, v227 
             
	;;#ASMEND
	s_waitcnt lgkmcnt(1)
	;;#ASMSTART
	
             v_fmac_f32 v178, v212, v228 
             
	;;#ASMEND
	;;#ASMSTART
	
             v_fmac_f32 v179, v212, v229 
             
	;;#ASMEND
	;; [unrolled: 5-line block ×16, first 2 shown]
	ds_load_b128 v[212:215], v192 offset:3072
	s_waitcnt lgkmcnt(1)
	;;#ASMSTART
	
             v_fmac_f32 v134, v240, v224 
             
	;;#ASMEND
	;;#ASMSTART
	
             v_fmac_f32 v145, v240, v225 
             
	;;#ASMEND
	;; [unrolled: 5-line block ×16, first 2 shown]
	ds_load_b128 v[224:227], v193 offset:19456
	;;#ASMSTART
	
             v_fmac_f32 v132, v240, v228 
             
	;;#ASMEND
	;;#ASMSTART
	
             v_fmac_f32 v133, v240, v229 
             
	;;#ASMEND
	;; [unrolled: 5-line block ×16, first 2 shown]
	ds_load_b128 v[228:231], v193 offset:19712
	ds_load_b128 v[240:243], v192 offset:3328
	s_waitcnt lgkmcnt(2)
	;;#ASMSTART
	
             v_fmac_f32 v182, v212, v224 
             
	;;#ASMEND
	;;#ASMSTART
	
             v_fmac_f32 v183, v212, v225 
             
	;;#ASMEND
	;;#ASMSTART
	
             v_fmac_f32 v180, v212, v226 
             
	;;#ASMEND
	;;#ASMSTART
	
             v_fmac_f32 v181, v212, v227 
             
	;;#ASMEND
	;;#ASMSTART
	
             v_fmac_f32 v167, v213, v224 
             
	;;#ASMEND
	;;#ASMSTART
	
             v_fmac_f32 v166, v213, v225 
             
	;;#ASMEND
	;;#ASMSTART
	
             v_fmac_f32 v165, v213, v226 
             
	;;#ASMEND
	;;#ASMSTART
	
             v_fmac_f32 v164, v213, v227 
             
	;;#ASMEND
	;;#ASMSTART
	
             v_fmac_f32 v161, v214, v224 
             
	;;#ASMEND
	;;#ASMSTART
	
             v_fmac_f32 v160, v214, v225 
             
	;;#ASMEND
	;;#ASMSTART
	
             v_fmac_f32 v151, v214, v226 
             
	;;#ASMEND
	;;#ASMSTART
	
             v_fmac_f32 v150, v214, v227 
             
	;;#ASMEND
	;;#ASMSTART
	
             v_fmac_f32 v149, v215, v224 
             
	;;#ASMEND
	;;#ASMSTART
	
             v_fmac_f32 v148, v215, v225 
             
	;;#ASMEND
	;;#ASMSTART
	
             v_fmac_f32 v147, v215, v226 
             
	;;#ASMEND
	;;#ASMSTART
	
             v_fmac_f32 v146, v215, v227 
             
	;;#ASMEND
	s_waitcnt lgkmcnt(1)
	;;#ASMSTART
	
             v_fmac_f32 v178, v212, v228 
             
	;;#ASMEND
	;;#ASMSTART
	
             v_fmac_f32 v179, v212, v229 
             
	;;#ASMEND
	;; [unrolled: 5-line block ×16, first 2 shown]
	ds_load_b128 v[212:215], v192 offset:3584
	s_waitcnt lgkmcnt(1)
	;;#ASMSTART
	
             v_fmac_f32 v134, v240, v224 
             
	;;#ASMEND
	;;#ASMSTART
	
             v_fmac_f32 v145, v240, v225 
             
	;;#ASMEND
	;; [unrolled: 5-line block ×16, first 2 shown]
	ds_load_b128 v[224:227], v193 offset:19968
	;;#ASMSTART
	
             v_fmac_f32 v132, v240, v228 
             
	;;#ASMEND
	;;#ASMSTART
	
             v_fmac_f32 v133, v240, v229 
             
	;;#ASMEND
	;; [unrolled: 5-line block ×16, first 2 shown]
	ds_load_b128 v[228:231], v193 offset:20224
	ds_load_b128 v[240:243], v192 offset:3840
	s_waitcnt lgkmcnt(2)
	;;#ASMSTART
	
             v_fmac_f32 v182, v212, v224 
             
	;;#ASMEND
	;;#ASMSTART
	
             v_fmac_f32 v183, v212, v225 
             
	;;#ASMEND
	;; [unrolled: 5-line block ×16, first 2 shown]
	s_waitcnt lgkmcnt(1)
	;;#ASMSTART
	
             v_fmac_f32 v178, v212, v228 
             
	;;#ASMEND
	;;#ASMSTART
	
             v_fmac_f32 v179, v212, v229 
             
	;;#ASMEND
	;; [unrolled: 5-line block ×16, first 2 shown]
	ds_load_b128 v[212:215], v192 offset:4096
	s_waitcnt lgkmcnt(1)
	;;#ASMSTART
	
             v_fmac_f32 v134, v240, v224 
             
	;;#ASMEND
	;;#ASMSTART
	
             v_fmac_f32 v145, v240, v225 
             
	;;#ASMEND
	;; [unrolled: 5-line block ×16, first 2 shown]
	ds_load_b128 v[224:227], v193 offset:20480
	;;#ASMSTART
	
             v_fmac_f32 v132, v240, v228 
             
	;;#ASMEND
	;;#ASMSTART
	
             v_fmac_f32 v133, v240, v229 
             
	;;#ASMEND
	;; [unrolled: 5-line block ×16, first 2 shown]
	ds_load_b128 v[228:231], v193 offset:20736
	ds_load_b128 v[240:243], v192 offset:4352
	s_waitcnt lgkmcnt(2)
	;;#ASMSTART
	
             v_fmac_f32 v182, v212, v224 
             
	;;#ASMEND
	;;#ASMSTART
	
             v_fmac_f32 v183, v212, v225 
             
	;;#ASMEND
	;;#ASMSTART
	
             v_fmac_f32 v180, v212, v226 
             
	;;#ASMEND
	;;#ASMSTART
	
             v_fmac_f32 v181, v212, v227 
             
	;;#ASMEND
	;;#ASMSTART
	
             v_fmac_f32 v167, v213, v224 
             
	;;#ASMEND
	;;#ASMSTART
	
             v_fmac_f32 v166, v213, v225 
             
	;;#ASMEND
	;;#ASMSTART
	
             v_fmac_f32 v165, v213, v226 
             
	;;#ASMEND
	;;#ASMSTART
	
             v_fmac_f32 v164, v213, v227 
             
	;;#ASMEND
	;;#ASMSTART
	
             v_fmac_f32 v161, v214, v224 
             
	;;#ASMEND
	;;#ASMSTART
	
             v_fmac_f32 v160, v214, v225 
             
	;;#ASMEND
	;;#ASMSTART
	
             v_fmac_f32 v151, v214, v226 
             
	;;#ASMEND
	;;#ASMSTART
	
             v_fmac_f32 v150, v214, v227 
             
	;;#ASMEND
	;;#ASMSTART
	
             v_fmac_f32 v149, v215, v224 
             
	;;#ASMEND
	;;#ASMSTART
	
             v_fmac_f32 v148, v215, v225 
             
	;;#ASMEND
	;;#ASMSTART
	
             v_fmac_f32 v147, v215, v226 
             
	;;#ASMEND
	;;#ASMSTART
	
             v_fmac_f32 v146, v215, v227 
             
	;;#ASMEND
	s_waitcnt lgkmcnt(1)
	;;#ASMSTART
	
             v_fmac_f32 v178, v212, v228 
             
	;;#ASMEND
	;;#ASMSTART
	
             v_fmac_f32 v179, v212, v229 
             
	;;#ASMEND
	;; [unrolled: 5-line block ×16, first 2 shown]
	ds_load_b128 v[212:215], v192 offset:4608
	s_waitcnt lgkmcnt(1)
	;;#ASMSTART
	
             v_fmac_f32 v134, v240, v224 
             
	;;#ASMEND
	;;#ASMSTART
	
             v_fmac_f32 v145, v240, v225 
             
	;;#ASMEND
	;; [unrolled: 5-line block ×16, first 2 shown]
	ds_load_b128 v[224:227], v193 offset:20992
	;;#ASMSTART
	
             v_fmac_f32 v132, v240, v228 
             
	;;#ASMEND
	;;#ASMSTART
	
             v_fmac_f32 v133, v240, v229 
             
	;;#ASMEND
	;; [unrolled: 5-line block ×16, first 2 shown]
	ds_load_b128 v[228:231], v193 offset:21248
	ds_load_b128 v[240:243], v192 offset:4864
	s_waitcnt lgkmcnt(2)
	;;#ASMSTART
	
             v_fmac_f32 v182, v212, v224 
             
	;;#ASMEND
	;;#ASMSTART
	
             v_fmac_f32 v183, v212, v225 
             
	;;#ASMEND
	;; [unrolled: 5-line block ×16, first 2 shown]
	s_waitcnt lgkmcnt(1)
	;;#ASMSTART
	
             v_fmac_f32 v178, v212, v228 
             
	;;#ASMEND
	;;#ASMSTART
	
             v_fmac_f32 v179, v212, v229 
             
	;;#ASMEND
	;; [unrolled: 5-line block ×16, first 2 shown]
	ds_load_b128 v[212:215], v192 offset:5120
	s_waitcnt lgkmcnt(1)
	;;#ASMSTART
	
             v_fmac_f32 v134, v240, v224 
             
	;;#ASMEND
	;;#ASMSTART
	
             v_fmac_f32 v145, v240, v225 
             
	;;#ASMEND
	;; [unrolled: 5-line block ×16, first 2 shown]
	ds_load_b128 v[224:227], v193 offset:21504
	;;#ASMSTART
	
             v_fmac_f32 v132, v240, v228 
             
	;;#ASMEND
	;;#ASMSTART
	
             v_fmac_f32 v133, v240, v229 
             
	;;#ASMEND
	;; [unrolled: 5-line block ×16, first 2 shown]
	ds_load_b128 v[228:231], v193 offset:21760
	ds_load_b128 v[240:243], v192 offset:5376
	s_waitcnt lgkmcnt(2)
	;;#ASMSTART
	
             v_fmac_f32 v182, v212, v224 
             
	;;#ASMEND
	;;#ASMSTART
	
             v_fmac_f32 v183, v212, v225 
             
	;;#ASMEND
	;; [unrolled: 5-line block ×16, first 2 shown]
	s_waitcnt lgkmcnt(1)
	;;#ASMSTART
	
             v_fmac_f32 v178, v212, v228 
             
	;;#ASMEND
	;;#ASMSTART
	
             v_fmac_f32 v179, v212, v229 
             
	;;#ASMEND
	;; [unrolled: 5-line block ×16, first 2 shown]
	ds_load_b128 v[212:215], v192 offset:5632
	s_waitcnt lgkmcnt(1)
	;;#ASMSTART
	
             v_fmac_f32 v134, v240, v224 
             
	;;#ASMEND
	;;#ASMSTART
	
             v_fmac_f32 v145, v240, v225 
             
	;;#ASMEND
	;; [unrolled: 5-line block ×16, first 2 shown]
	ds_load_b128 v[224:227], v193 offset:22016
	;;#ASMSTART
	
             v_fmac_f32 v132, v240, v228 
             
	;;#ASMEND
	;;#ASMSTART
	
             v_fmac_f32 v133, v240, v229 
             
	;;#ASMEND
	;; [unrolled: 5-line block ×16, first 2 shown]
	ds_load_b128 v[228:231], v193 offset:22272
	ds_load_b128 v[240:243], v192 offset:5888
	s_waitcnt lgkmcnt(2)
	;;#ASMSTART
	
             v_fmac_f32 v182, v212, v224 
             
	;;#ASMEND
	;;#ASMSTART
	
             v_fmac_f32 v183, v212, v225 
             
	;;#ASMEND
	;; [unrolled: 5-line block ×16, first 2 shown]
	s_waitcnt lgkmcnt(1)
	;;#ASMSTART
	
             v_fmac_f32 v178, v212, v228 
             
	;;#ASMEND
	;;#ASMSTART
	
             v_fmac_f32 v179, v212, v229 
             
	;;#ASMEND
	;; [unrolled: 5-line block ×16, first 2 shown]
	ds_load_b128 v[212:215], v192 offset:6144
	s_waitcnt lgkmcnt(1)
	;;#ASMSTART
	
             v_fmac_f32 v134, v240, v224 
             
	;;#ASMEND
	;;#ASMSTART
	
             v_fmac_f32 v145, v240, v225 
             
	;;#ASMEND
	;; [unrolled: 5-line block ×16, first 2 shown]
	ds_load_b128 v[224:227], v193 offset:22528
	;;#ASMSTART
	
             v_fmac_f32 v132, v240, v228 
             
	;;#ASMEND
	;;#ASMSTART
	
             v_fmac_f32 v133, v240, v229 
             
	;;#ASMEND
	;; [unrolled: 5-line block ×16, first 2 shown]
	ds_load_b128 v[228:231], v193 offset:22784
	ds_load_b128 v[240:243], v192 offset:6400
	s_waitcnt lgkmcnt(2)
	;;#ASMSTART
	
             v_fmac_f32 v182, v212, v224 
             
	;;#ASMEND
	;;#ASMSTART
	
             v_fmac_f32 v183, v212, v225 
             
	;;#ASMEND
	;; [unrolled: 5-line block ×16, first 2 shown]
	s_waitcnt lgkmcnt(1)
	;;#ASMSTART
	
             v_fmac_f32 v178, v212, v228 
             
	;;#ASMEND
	;;#ASMSTART
	
             v_fmac_f32 v179, v212, v229 
             
	;;#ASMEND
	;;#ASMSTART
	
             v_fmac_f32 v176, v212, v230 
             
	;;#ASMEND
	;;#ASMSTART
	
             v_fmac_f32 v177, v212, v231 
             
	;;#ASMEND
	;;#ASMSTART
	
             v_fmac_f32 v162, v213, v228 
             
	;;#ASMEND
	;;#ASMSTART
	
             v_fmac_f32 v163, v213, v229 
             
	;;#ASMEND
	;;#ASMSTART
	
             v_fmac_f32 v68, v213, v230 
             
	;;#ASMEND
	;;#ASMSTART
	
             v_fmac_f32 v71, v213, v231 
             
	;;#ASMEND
	;;#ASMSTART
	
             v_fmac_f32 v66, v214, v228 
             
	;;#ASMEND
	;;#ASMSTART
	
             v_fmac_f32 v67, v214, v229 
             
	;;#ASMEND
	;;#ASMSTART
	
             v_fmac_f32 v64, v214, v230 
             
	;;#ASMEND
	;;#ASMSTART
	
             v_fmac_f32 v65, v214, v231 
             
	;;#ASMEND
	;;#ASMSTART
	
             v_fmac_f32 v83, v215, v228 
             
	;;#ASMEND
	;;#ASMSTART
	
             v_fmac_f32 v82, v215, v229 
             
	;;#ASMEND
	;;#ASMSTART
	
             v_fmac_f32 v80, v215, v230 
             
	;;#ASMEND
	;;#ASMSTART
	
             v_fmac_f32 v81, v215, v231 
             
	;;#ASMEND
	ds_load_b128 v[212:215], v192 offset:6656
	s_waitcnt lgkmcnt(1)
	;;#ASMSTART
	
             v_fmac_f32 v134, v240, v224 
             
	;;#ASMEND
	;;#ASMSTART
	
             v_fmac_f32 v145, v240, v225 
             
	;;#ASMEND
	;; [unrolled: 5-line block ×16, first 2 shown]
	ds_load_b128 v[224:227], v193 offset:23040
	;;#ASMSTART
	
             v_fmac_f32 v132, v240, v228 
             
	;;#ASMEND
	;;#ASMSTART
	
             v_fmac_f32 v133, v240, v229 
             
	;;#ASMEND
	;; [unrolled: 5-line block ×16, first 2 shown]
	ds_load_b128 v[228:231], v193 offset:23296
	ds_load_b128 v[240:243], v192 offset:6912
	s_waitcnt lgkmcnt(2)
	;;#ASMSTART
	
             v_fmac_f32 v182, v212, v224 
             
	;;#ASMEND
	;;#ASMSTART
	
             v_fmac_f32 v183, v212, v225 
             
	;;#ASMEND
	;; [unrolled: 5-line block ×16, first 2 shown]
	s_waitcnt lgkmcnt(1)
	;;#ASMSTART
	
             v_fmac_f32 v178, v212, v228 
             
	;;#ASMEND
	;;#ASMSTART
	
             v_fmac_f32 v179, v212, v229 
             
	;;#ASMEND
	;; [unrolled: 5-line block ×16, first 2 shown]
	ds_load_b128 v[212:215], v192 offset:7168
	s_waitcnt lgkmcnt(1)
	;;#ASMSTART
	
             v_fmac_f32 v134, v240, v224 
             
	;;#ASMEND
	;;#ASMSTART
	
             v_fmac_f32 v145, v240, v225 
             
	;;#ASMEND
	;; [unrolled: 5-line block ×16, first 2 shown]
	ds_load_b128 v[224:227], v193 offset:23552
	;;#ASMSTART
	
             v_fmac_f32 v132, v240, v228 
             
	;;#ASMEND
	;;#ASMSTART
	
             v_fmac_f32 v133, v240, v229 
             
	;;#ASMEND
	;; [unrolled: 5-line block ×16, first 2 shown]
	ds_load_b128 v[228:231], v193 offset:23808
	ds_load_b128 v[240:243], v192 offset:7424
	s_waitcnt lgkmcnt(2)
	;;#ASMSTART
	
             v_fmac_f32 v182, v212, v224 
             
	;;#ASMEND
	;;#ASMSTART
	
             v_fmac_f32 v183, v212, v225 
             
	;;#ASMEND
	;; [unrolled: 5-line block ×16, first 2 shown]
	s_waitcnt lgkmcnt(1)
	;;#ASMSTART
	
             v_fmac_f32 v178, v212, v228 
             
	;;#ASMEND
	;;#ASMSTART
	
             v_fmac_f32 v179, v212, v229 
             
	;;#ASMEND
	;; [unrolled: 5-line block ×16, first 2 shown]
	ds_load_b128 v[212:215], v192 offset:7680
	s_waitcnt lgkmcnt(1)
	;;#ASMSTART
	
             v_fmac_f32 v134, v240, v224 
             
	;;#ASMEND
	;;#ASMSTART
	
             v_fmac_f32 v145, v240, v225 
             
	;;#ASMEND
	;; [unrolled: 5-line block ×16, first 2 shown]
	ds_load_b128 v[224:227], v193 offset:24064
	;;#ASMSTART
	
             v_fmac_f32 v132, v240, v228 
             
	;;#ASMEND
	;;#ASMSTART
	
             v_fmac_f32 v133, v240, v229 
             
	;;#ASMEND
	;; [unrolled: 5-line block ×16, first 2 shown]
	ds_load_b128 v[228:231], v193 offset:24320
	ds_load_b128 v[240:243], v192 offset:7936
	s_waitcnt lgkmcnt(2)
	;;#ASMSTART
	
             v_fmac_f32 v182, v212, v224 
             
	;;#ASMEND
	;;#ASMSTART
	
             v_fmac_f32 v183, v212, v225 
             
	;;#ASMEND
	;; [unrolled: 5-line block ×16, first 2 shown]
	s_waitcnt lgkmcnt(1)
	;;#ASMSTART
	
             v_fmac_f32 v178, v212, v228 
             
	;;#ASMEND
	;;#ASMSTART
	
             v_fmac_f32 v179, v212, v229 
             
	;;#ASMEND
	;; [unrolled: 5-line block ×16, first 2 shown]
	s_waitcnt lgkmcnt(0)
	;;#ASMSTART
	
             v_fmac_f32 v134, v240, v224 
             
	;;#ASMEND
	;;#ASMSTART
	
             v_fmac_f32 v145, v240, v225 
             
	;;#ASMEND
	;; [unrolled: 5-line block ×32, first 2 shown]
	ds_store_2addr_stride64_b32 v195, v37, v36 offset0:2 offset1:4
	ds_store_2addr_stride64_b32 v195, v35, v51 offset0:6 offset1:8
	;; [unrolled: 1-line block ×3, first 2 shown]
	ds_store_b32 v195, v48 offset:3584
	ds_store_2addr_stride64_b32 v194, v38, v211 offset0:32 offset1:96
	ds_store_2addr_stride64_b32 v196, v210, v53 offset0:2 offset1:4
	;; [unrolled: 1-line block ×4, first 2 shown]
	ds_store_b32 v196, v19 offset:3584
	s_clause 0x6
	flat_load_b32 v210, v[8:9] offset:276
	flat_load_b96 v[48:50], v[8:9] offset:212
	flat_load_b96 v[36:38], v[8:9] offset:228
	;; [unrolled: 1-line block ×3, first 2 shown]
	flat_load_b32 v240, v[8:9] offset:128
	flat_load_b32 v230, v[8:9] offset:112
	;; [unrolled: 1-line block ×5, first 2 shown]
	s_waitcnt vmcnt(8) lgkmcnt(8)
	v_mul_lo_u32 v16, v210, 12
	s_delay_alu instid0(VALU_DEP_1) | instskip(SKIP_2) | instid1(VALU_DEP_2)
	v_add_nc_u32_e32 v211, v16, v208
	v_add_nc_u32_e32 v215, v16, v33
	s_waitcnt vmcnt(7) lgkmcnt(7)
	v_mul_hi_u32 v16, v211, v50
	s_waitcnt vmcnt(0) lgkmcnt(0)
	s_delay_alu instid0(VALU_DEP_2) | instskip(NEXT) | instid1(VALU_DEP_2)
	v_cmp_lt_i32_e64 s0, v215, v242
	v_add_nc_u32_e32 v16, v211, v16
	s_delay_alu instid0(VALU_DEP_1) | instskip(NEXT) | instid1(VALU_DEP_1)
	v_lshrrev_b32_e32 v16, v38, v16
	v_mul_lo_u32 v17, v16, v53
	s_delay_alu instid0(VALU_DEP_1) | instskip(SKIP_1) | instid1(VALU_DEP_2)
	v_sub_nc_u32_e32 v224, v211, v17
	v_mul_hi_u32 v17, v16, v49
	v_sub_nc_u32_e32 v33, v224, v34
	s_delay_alu instid0(VALU_DEP_2) | instskip(NEXT) | instid1(VALU_DEP_1)
	v_add_nc_u32_e32 v17, v16, v17
	v_lshrrev_b32_e32 v17, v37, v17
	s_delay_alu instid0(VALU_DEP_1) | instskip(NEXT) | instid1(VALU_DEP_1)
	v_mul_lo_u32 v18, v17, v52
	v_sub_nc_u32_e32 v208, v16, v18
	v_mul_hi_u32 v18, v17, v48
	s_delay_alu instid0(VALU_DEP_2) | instskip(NEXT) | instid1(VALU_DEP_2)
	v_sub_nc_u32_e32 v16, v208, v199
	v_add_nc_u32_e32 v18, v17, v18
	s_delay_alu instid0(VALU_DEP_1) | instskip(NEXT) | instid1(VALU_DEP_1)
	v_lshrrev_b32_e32 v226, v36, v18
	v_mul_lo_u32 v18, v226, v51
	s_delay_alu instid0(VALU_DEP_1) | instskip(SKIP_2) | instid1(VALU_DEP_3)
	v_sub_nc_u32_e32 v225, v17, v18
	v_sub_nc_u32_e32 v18, v226, v27
	v_mul_lo_u32 v27, v16, v240
	v_sub_nc_u32_e32 v17, v225, v30
	s_delay_alu instid0(VALU_DEP_1) | instskip(NEXT) | instid1(VALU_DEP_3)
	v_mul_lo_u32 v30, v17, v230
	v_add_nc_u32_e32 v228, v27, v32
	s_delay_alu instid0(VALU_DEP_2)
	v_add_nc_u32_e32 v227, v30, v29
	v_mul_lo_u32 v29, v18, v241
	flat_load_b128 v[16:19], v[8:9] offset:24
	v_add_nc_u32_e32 v229, v29, v28
	s_waitcnt vmcnt(0) lgkmcnt(0)
	v_mul_lo_u32 v28, v29, v16
	v_mul_lo_u32 v29, v30, v17
	v_mul_lo_u32 v27, v27, v18
	v_mul_lo_u32 v30, v19, v33
	s_delay_alu instid0(VALU_DEP_1) | instskip(NEXT) | instid1(VALU_DEP_1)
	v_add3_u32 v26, v30, v26, v27
	v_add3_u32 v231, v26, v28, v29
	v_mul_lo_u32 v26, v212, 12
	s_delay_alu instid0(VALU_DEP_1)
	v_add_nc_u32_e32 v214, v26, v31
	v_add_nc_u32_e32 v213, v26, v209
	flat_load_b32 v26, v[8:9] offset:248
	s_waitcnt vmcnt(0) lgkmcnt(0)
	v_cmp_lt_i32_e32 vcc_lo, v1, v26
	s_clause 0x1
	flat_load_b128 v[26:29], v[8:9] offset:60
	flat_load_b32 v30, v[8:9] offset:76
	s_waitcnt vmcnt(1) lgkmcnt(1)
	v_cmp_le_i32_e64 s1, v29, v228
	s_waitcnt vmcnt(0) lgkmcnt(0)
	v_sub_nc_u32_e32 v243, v28, v30
	flat_load_b128 v[30:33], v[8:9] offset:44
	v_cmp_gt_i32_e64 s2, v243, v228
	s_delay_alu instid0(VALU_DEP_1) | instskip(NEXT) | instid1(SALU_CYCLE_1)
	s_and_b32 s1, s1, s2
	s_and_b32 s2, s0, s1
	v_cmp_le_i32_e64 s0, v26, v227
	s_waitcnt vmcnt(0) lgkmcnt(0)
	v_sub_nc_u32_e32 v244, v33, v27
	v_sub_nc_u32_e32 v245, v30, v32
	v_lshlrev_b32_e32 v27, 2, v231
	s_delay_alu instid0(VALU_DEP_3) | instskip(NEXT) | instid1(VALU_DEP_1)
	v_cmp_gt_i32_e64 s1, v244, v227
	s_and_b32 s0, s0, s1
	s_delay_alu instid0(VALU_DEP_3) | instskip(SKIP_2) | instid1(VALU_DEP_1)
	v_cmp_gt_i32_e64 s1, v245, v229
	s_and_b32 s2, s2, s0
	v_cmp_le_i32_e64 s0, v31, v229
	s_and_b32 s0, s0, s1
	s_delay_alu instid0(SALU_CYCLE_1) | instskip(NEXT) | instid1(SALU_CYCLE_1)
	s_and_b32 s0, s2, s0
	s_and_b32 s0, vcc_lo, s0
.LBB13_18:                              ;   Parent Loop BB13_9 Depth=1
                                        ; =>  This Inner Loop Header: Depth=2
	v_readfirstlane_b32 s4, v22
	v_readfirstlane_b32 s5, v23
	v_readfirstlane_b32 s6, v24
	v_readfirstlane_b32 s7, v25
	s_delay_alu instid0(VALU_DEP_3) | instskip(NEXT) | instid1(VALU_DEP_2)
	v_cmp_eq_u64_e64 s1, s[4:5], v[22:23]
	v_cmp_eq_u64_e64 s2, s[6:7], v[24:25]
	s_delay_alu instid0(VALU_DEP_1) | instskip(NEXT) | instid1(SALU_CYCLE_1)
	s_and_b32 s1, s1, s2
	s_and_saveexec_b32 s1, s1
	buffer_load_b128 v[32:35], v27, s[4:7], 0 offen
                                        ; implicit-def: $vgpr27
	s_xor_b32 exec_lo, exec_lo, s1
	s_cbranch_execnz .LBB13_18
; %bb.19:                               ;   in Loop: Header=BB13_9 Depth=1
	s_mov_b32 exec_lo, s3
	v_lshlrev_b32_e32 v30, 2, v210
	s_delay_alu instid0(VALU_DEP_1) | instskip(NEXT) | instid1(VALU_DEP_1)
	v_add_nc_u32_e32 v211, v30, v211
	v_mul_hi_u32 v27, v211, v50
	s_delay_alu instid0(VALU_DEP_1) | instskip(NEXT) | instid1(VALU_DEP_1)
	v_add_nc_u32_e32 v27, v211, v27
	v_lshrrev_b32_e32 v27, v38, v27
	s_delay_alu instid0(VALU_DEP_1) | instskip(NEXT) | instid1(VALU_DEP_1)
	v_mul_hi_u32 v28, v27, v49
	v_add_nc_u32_e32 v28, v27, v28
	s_delay_alu instid0(VALU_DEP_1) | instskip(NEXT) | instid1(VALU_DEP_1)
	v_lshrrev_b32_e32 v37, v37, v28
	v_mul_hi_u32 v28, v37, v48
	v_mul_lo_u32 v38, v37, v52
	v_mul_lo_u32 v48, v27, v53
	s_delay_alu instid0(VALU_DEP_3) | instskip(NEXT) | instid1(VALU_DEP_3)
	v_add_nc_u32_e32 v28, v37, v28
	v_sub_nc_u32_e32 v209, v27, v38
	s_delay_alu instid0(VALU_DEP_3)
	v_sub_nc_u32_e32 v210, v211, v48
	s_waitcnt vmcnt(0)
	v_cndmask_b32_e64 v27, 0, v35, s0
	v_cndmask_b32_e64 v38, 0, v32, s0
	v_lshrrev_b32_e32 v199, v36, v28
	v_cndmask_b32_e64 v28, 0, v34, s0
	v_sub_nc_u32_e32 v34, v209, v208
	v_sub_nc_u32_e32 v48, v210, v224
	s_delay_alu instid0(VALU_DEP_4) | instskip(SKIP_1) | instid1(VALU_DEP_3)
	v_mul_lo_u32 v36, v199, v51
	v_sub_nc_u32_e32 v35, v199, v226
	v_mul_lo_u32 v19, v19, v48
	s_delay_alu instid0(VALU_DEP_2) | instskip(NEXT) | instid1(VALU_DEP_4)
	v_mul_lo_u32 v35, v35, v241
	v_sub_nc_u32_e32 v208, v37, v36
	v_cndmask_b32_e64 v37, 0, v33, s0
	v_mul_lo_u32 v33, v34, v240
	v_add_nc_u32_e32 v36, v30, v215
	s_delay_alu instid0(VALU_DEP_4) | instskip(SKIP_1) | instid1(VALU_DEP_3)
	v_sub_nc_u32_e32 v34, v208, v225
	v_mul_lo_u32 v16, v35, v16
	v_cmp_lt_i32_e64 s0, v36, v242
	v_mul_lo_u32 v18, v33, v18
	s_delay_alu instid0(VALU_DEP_4) | instskip(SKIP_2) | instid1(VALU_DEP_2)
	v_mul_lo_u32 v49, v34, v230
	v_add_nc_u32_e32 v32, v33, v228
	v_add_nc_u32_e32 v34, v35, v229
	v_cmp_le_i32_e64 s1, v29, v32
	v_cmp_gt_i32_e64 s2, v243, v32
	v_add_nc_u32_e32 v30, v49, v227
	v_mul_lo_u32 v17, v49, v17
	v_add3_u32 v18, v19, v231, v18
	v_cmp_le_i32_e64 s3, v31, v34
	v_cmp_gt_i32_e64 s6, v245, v34
	v_cmp_le_i32_e64 s4, v26, v30
	v_cmp_gt_i32_e64 s5, v244, v30
	s_and_b32 s1, s1, s2
	v_add3_u32 v31, v18, v16, v17
	s_and_b32 s0, s0, s1
	s_delay_alu instid0(VALU_DEP_2)
	s_and_b32 s1, s4, s5
	s_and_b32 s2, s3, s6
	;; [unrolled: 1-line block ×3, first 2 shown]
	v_lshlrev_b32_e32 v26, 2, v31
	s_and_b32 s0, s2, s0
	s_mov_b32 s2, exec_lo
	s_and_b32 s0, vcc_lo, s0
.LBB13_20:                              ;   Parent Loop BB13_9 Depth=1
                                        ; =>  This Inner Loop Header: Depth=2
	v_readfirstlane_b32 s4, v22
	v_readfirstlane_b32 s5, v23
	;; [unrolled: 1-line block ×4, first 2 shown]
	s_delay_alu instid0(VALU_DEP_3) | instskip(NEXT) | instid1(VALU_DEP_2)
	v_cmp_eq_u64_e32 vcc_lo, s[4:5], v[22:23]
	v_cmp_eq_u64_e64 s1, s[6:7], v[24:25]
	s_delay_alu instid0(VALU_DEP_1) | instskip(NEXT) | instid1(SALU_CYCLE_1)
	s_and_b32 s1, vcc_lo, s1
	s_and_saveexec_b32 s1, s1
	buffer_load_b128 v[16:19], v26, s[4:7], 0 offen
                                        ; implicit-def: $vgpr26
	s_xor_b32 exec_lo, exec_lo, s1
	s_cbranch_execnz .LBB13_20
; %bb.21:                               ;   in Loop: Header=BB13_9 Depth=1
	s_mov_b32 exec_lo, s2
	s_clause 0x1
	flat_load_b32 v52, v[10:11] offset:32
	flat_load_b32 v33, v[10:11] offset:20
	s_waitcnt vmcnt(2)
	v_cndmask_b32_e64 v26, 0, v19, s0
	v_cndmask_b32_e64 v29, 0, v18, s0
	;; [unrolled: 1-line block ×4, first 2 shown]
	s_mov_b32 s3, exec_lo
	s_waitcnt vmcnt(1) lgkmcnt(1)
	v_cmp_gt_i32_e64 s1, v52, v214
	s_waitcnt vmcnt(0) lgkmcnt(0)
	v_cmp_gt_i32_e32 vcc_lo, v33, v197
	v_lshlrev_b32_e32 v33, 2, v213
	s_delay_alu instid0(VALU_DEP_3)
	s_and_b32 s0, vcc_lo, s1
.LBB13_22:                              ;   Parent Loop BB13_9 Depth=1
                                        ; =>  This Inner Loop Header: Depth=2
	v_readfirstlane_b32 s4, v2
	v_readfirstlane_b32 s5, v3
	;; [unrolled: 1-line block ×4, first 2 shown]
	s_delay_alu instid0(VALU_DEP_3) | instskip(NEXT) | instid1(VALU_DEP_2)
	v_cmp_eq_u64_e64 s1, s[4:5], v[2:3]
	v_cmp_eq_u64_e64 s2, s[6:7], v[4:5]
	s_delay_alu instid0(VALU_DEP_1) | instskip(NEXT) | instid1(SALU_CYCLE_1)
	s_and_b32 s1, s1, s2
	s_and_saveexec_b32 s1, s1
	buffer_load_b128 v[16:19], v33, s[4:7], 0 offen
                                        ; implicit-def: $vgpr33
	s_xor_b32 exec_lo, exec_lo, s1
	s_cbranch_execnz .LBB13_22
; %bb.23:                               ;   in Loop: Header=BB13_9 Depth=1
	s_mov_b32 exec_lo, s3
	v_lshlrev_b32_e32 v35, 2, v212
	s_waitcnt vmcnt(0)
	v_cndmask_b32_e64 v50, 0, v19, s0
	v_cndmask_b32_e64 v51, 0, v18, s0
	;; [unrolled: 1-line block ×3, first 2 shown]
	s_mov_b32 s2, exec_lo
	v_add_nc_u32_e32 v33, v35, v214
	v_add_nc_u32_e32 v35, v35, v213
	s_delay_alu instid0(VALU_DEP_2) | instskip(SKIP_1) | instid1(VALU_DEP_3)
	v_cmp_gt_i32_e64 s1, v52, v33
	v_cndmask_b32_e64 v52, 0, v16, s0
	v_lshlrev_b32_e32 v212, 2, v35
	s_delay_alu instid0(VALU_DEP_3)
	s_and_b32 vcc_lo, vcc_lo, s1
.LBB13_24:                              ;   Parent Loop BB13_9 Depth=1
                                        ; =>  This Inner Loop Header: Depth=2
	v_readfirstlane_b32 s4, v2
	v_readfirstlane_b32 s5, v3
	;; [unrolled: 1-line block ×4, first 2 shown]
	s_delay_alu instid0(VALU_DEP_3) | instskip(NEXT) | instid1(VALU_DEP_2)
	v_cmp_eq_u64_e64 s0, s[4:5], v[2:3]
	v_cmp_eq_u64_e64 s1, s[6:7], v[4:5]
	s_delay_alu instid0(VALU_DEP_1) | instskip(NEXT) | instid1(SALU_CYCLE_1)
	s_and_b32 s0, s0, s1
	s_and_saveexec_b32 s0, s0
	buffer_load_b128 v[16:19], v212, s[4:7], 0 offen
                                        ; implicit-def: $vgpr212
	s_xor_b32 exec_lo, exec_lo, s0
	s_cbranch_execnz .LBB13_24
; %bb.25:                               ;   in Loop: Header=BB13_9 Depth=1
	s_mov_b32 exec_lo, s2
	s_waitcnt vmcnt(0) lgkmcnt(0)
	s_barrier
	ds_load_b128 v[212:215], v192 offset:8192
	ds_load_b128 v[224:227], v193 offset:24576
	;; [unrolled: 1-line block ×4, first 2 shown]
	s_add_i32 s11, s11, 32
	v_dual_cndmask_b32 v244, 0, v19 :: v_dual_cndmask_b32 v245, 0, v18
	s_waitcnt lgkmcnt(2)
	;;#ASMSTART
	
             v_fmac_f32 v182, v212, v224 
             
	;;#ASMEND
	;;#ASMSTART
	
             v_fmac_f32 v183, v212, v225 
             
	;;#ASMEND
	;; [unrolled: 5-line block ×16, first 2 shown]
	s_waitcnt lgkmcnt(1)
	;;#ASMSTART
	
             v_fmac_f32 v178, v212, v228 
             
	;;#ASMEND
	;;#ASMSTART
	
             v_fmac_f32 v179, v212, v229 
             
	;;#ASMEND
	;;#ASMSTART
	
             v_fmac_f32 v176, v212, v230 
             
	;;#ASMEND
	;;#ASMSTART
	
             v_fmac_f32 v177, v212, v231 
             
	;;#ASMEND
	;;#ASMSTART
	
             v_fmac_f32 v162, v213, v228 
             
	;;#ASMEND
	;;#ASMSTART
	
             v_fmac_f32 v163, v213, v229 
             
	;;#ASMEND
	;;#ASMSTART
	
             v_fmac_f32 v68, v213, v230 
             
	;;#ASMEND
	;;#ASMSTART
	
             v_fmac_f32 v71, v213, v231 
             
	;;#ASMEND
	;;#ASMSTART
	
             v_fmac_f32 v66, v214, v228 
             
	;;#ASMEND
	;;#ASMSTART
	
             v_fmac_f32 v67, v214, v229 
             
	;;#ASMEND
	;;#ASMSTART
	
             v_fmac_f32 v64, v214, v230 
             
	;;#ASMEND
	;;#ASMSTART
	
             v_fmac_f32 v65, v214, v231 
             
	;;#ASMEND
	;;#ASMSTART
	
             v_fmac_f32 v83, v215, v228 
             
	;;#ASMEND
	;;#ASMSTART
	
             v_fmac_f32 v82, v215, v229 
             
	;;#ASMEND
	;;#ASMSTART
	
             v_fmac_f32 v80, v215, v230 
             
	;;#ASMEND
	;;#ASMSTART
	
             v_fmac_f32 v81, v215, v231 
             
	;;#ASMEND
	ds_load_b128 v[212:215], v192 offset:8704
	s_waitcnt lgkmcnt(1)
	;;#ASMSTART
	
             v_fmac_f32 v134, v240, v224 
             
	;;#ASMEND
	;;#ASMSTART
	
             v_fmac_f32 v145, v240, v225 
             
	;;#ASMEND
	;; [unrolled: 5-line block ×16, first 2 shown]
	ds_load_b128 v[224:227], v193 offset:25088
	;;#ASMSTART
	
             v_fmac_f32 v132, v240, v228 
             
	;;#ASMEND
	;;#ASMSTART
	
             v_fmac_f32 v133, v240, v229 
             
	;;#ASMEND
	;; [unrolled: 5-line block ×16, first 2 shown]
	ds_load_b128 v[228:231], v193 offset:25344
	ds_load_b128 v[240:243], v192 offset:8960
	s_waitcnt lgkmcnt(2)
	;;#ASMSTART
	
             v_fmac_f32 v182, v212, v224 
             
	;;#ASMEND
	;;#ASMSTART
	
             v_fmac_f32 v183, v212, v225 
             
	;;#ASMEND
	;; [unrolled: 5-line block ×16, first 2 shown]
	s_waitcnt lgkmcnt(1)
	;;#ASMSTART
	
             v_fmac_f32 v178, v212, v228 
             
	;;#ASMEND
	;;#ASMSTART
	
             v_fmac_f32 v179, v212, v229 
             
	;;#ASMEND
	;; [unrolled: 5-line block ×16, first 2 shown]
	ds_load_b128 v[212:215], v192 offset:9216
	s_waitcnt lgkmcnt(1)
	;;#ASMSTART
	
             v_fmac_f32 v134, v240, v224 
             
	;;#ASMEND
	;;#ASMSTART
	
             v_fmac_f32 v145, v240, v225 
             
	;;#ASMEND
	;; [unrolled: 5-line block ×16, first 2 shown]
	ds_load_b128 v[224:227], v193 offset:25600
	;;#ASMSTART
	
             v_fmac_f32 v132, v240, v228 
             
	;;#ASMEND
	;;#ASMSTART
	
             v_fmac_f32 v133, v240, v229 
             
	;;#ASMEND
	;; [unrolled: 5-line block ×16, first 2 shown]
	ds_load_b128 v[228:231], v193 offset:25856
	ds_load_b128 v[240:243], v192 offset:9472
	s_waitcnt lgkmcnt(2)
	;;#ASMSTART
	
             v_fmac_f32 v182, v212, v224 
             
	;;#ASMEND
	;;#ASMSTART
	
             v_fmac_f32 v183, v212, v225 
             
	;;#ASMEND
	;; [unrolled: 5-line block ×16, first 2 shown]
	s_waitcnt lgkmcnt(1)
	;;#ASMSTART
	
             v_fmac_f32 v178, v212, v228 
             
	;;#ASMEND
	;;#ASMSTART
	
             v_fmac_f32 v179, v212, v229 
             
	;;#ASMEND
	;; [unrolled: 5-line block ×16, first 2 shown]
	ds_load_b128 v[212:215], v192 offset:9728
	s_waitcnt lgkmcnt(1)
	;;#ASMSTART
	
             v_fmac_f32 v134, v240, v224 
             
	;;#ASMEND
	;;#ASMSTART
	
             v_fmac_f32 v145, v240, v225 
             
	;;#ASMEND
	;; [unrolled: 5-line block ×16, first 2 shown]
	ds_load_b128 v[224:227], v193 offset:26112
	;;#ASMSTART
	
             v_fmac_f32 v132, v240, v228 
             
	;;#ASMEND
	;;#ASMSTART
	
             v_fmac_f32 v133, v240, v229 
             
	;;#ASMEND
	;; [unrolled: 5-line block ×16, first 2 shown]
	ds_load_b128 v[228:231], v193 offset:26368
	ds_load_b128 v[240:243], v192 offset:9984
	s_waitcnt lgkmcnt(2)
	;;#ASMSTART
	
             v_fmac_f32 v182, v212, v224 
             
	;;#ASMEND
	;;#ASMSTART
	
             v_fmac_f32 v183, v212, v225 
             
	;;#ASMEND
	;; [unrolled: 5-line block ×16, first 2 shown]
	s_waitcnt lgkmcnt(1)
	;;#ASMSTART
	
             v_fmac_f32 v178, v212, v228 
             
	;;#ASMEND
	;;#ASMSTART
	
             v_fmac_f32 v179, v212, v229 
             
	;;#ASMEND
	;; [unrolled: 5-line block ×16, first 2 shown]
	ds_load_b128 v[212:215], v192 offset:10240
	s_waitcnt lgkmcnt(1)
	;;#ASMSTART
	
             v_fmac_f32 v134, v240, v224 
             
	;;#ASMEND
	;;#ASMSTART
	
             v_fmac_f32 v145, v240, v225 
             
	;;#ASMEND
	;; [unrolled: 5-line block ×16, first 2 shown]
	ds_load_b128 v[224:227], v193 offset:26624
	;;#ASMSTART
	
             v_fmac_f32 v132, v240, v228 
             
	;;#ASMEND
	;;#ASMSTART
	
             v_fmac_f32 v133, v240, v229 
             
	;;#ASMEND
	;;#ASMSTART
	
             v_fmac_f32 v39, v240, v230 
             
	;;#ASMEND
	;;#ASMSTART
	
             v_fmac_f32 v131, v240, v231 
             
	;;#ASMEND
	;;#ASMSTART
	
             v_fmac_f32 v86, v241, v228 
             
	;;#ASMEND
	;;#ASMSTART
	
             v_fmac_f32 v87, v241, v229 
             
	;;#ASMEND
	;;#ASMSTART
	
             v_fmac_f32 v84, v241, v230 
             
	;;#ASMEND
	;;#ASMSTART
	
             v_fmac_f32 v85, v241, v231 
             
	;;#ASMEND
	;;#ASMSTART
	
             v_fmac_f32 v102, v242, v228 
             
	;;#ASMEND
	;;#ASMSTART
	
             v_fmac_f32 v103, v242, v229 
             
	;;#ASMEND
	;;#ASMSTART
	
             v_fmac_f32 v100, v242, v230 
             
	;;#ASMEND
	;;#ASMSTART
	
             v_fmac_f32 v101, v242, v231 
             
	;;#ASMEND
	;;#ASMSTART
	
             v_fmac_f32 v119, v243, v228 
             
	;;#ASMEND
	;;#ASMSTART
	
             v_fmac_f32 v117, v243, v229 
             
	;;#ASMEND
	;;#ASMSTART
	
             v_fmac_f32 v118, v243, v230 
             
	;;#ASMEND
	;;#ASMSTART
	
             v_fmac_f32 v128, v243, v231 
             
	;;#ASMEND
	ds_load_b128 v[228:231], v193 offset:26880
	ds_load_b128 v[240:243], v192 offset:10496
	s_waitcnt lgkmcnt(2)
	;;#ASMSTART
	
             v_fmac_f32 v182, v212, v224 
             
	;;#ASMEND
	;;#ASMSTART
	
             v_fmac_f32 v183, v212, v225 
             
	;;#ASMEND
	;; [unrolled: 5-line block ×16, first 2 shown]
	s_waitcnt lgkmcnt(1)
	;;#ASMSTART
	
             v_fmac_f32 v178, v212, v228 
             
	;;#ASMEND
	;;#ASMSTART
	
             v_fmac_f32 v179, v212, v229 
             
	;;#ASMEND
	;; [unrolled: 5-line block ×16, first 2 shown]
	ds_load_b128 v[212:215], v192 offset:10752
	s_waitcnt lgkmcnt(1)
	;;#ASMSTART
	
             v_fmac_f32 v134, v240, v224 
             
	;;#ASMEND
	;;#ASMSTART
	
             v_fmac_f32 v145, v240, v225 
             
	;;#ASMEND
	;; [unrolled: 5-line block ×16, first 2 shown]
	ds_load_b128 v[224:227], v193 offset:27136
	;;#ASMSTART
	
             v_fmac_f32 v132, v240, v228 
             
	;;#ASMEND
	;;#ASMSTART
	
             v_fmac_f32 v133, v240, v229 
             
	;;#ASMEND
	;; [unrolled: 5-line block ×16, first 2 shown]
	ds_load_b128 v[228:231], v193 offset:27392
	ds_load_b128 v[240:243], v192 offset:11008
	s_waitcnt lgkmcnt(2)
	;;#ASMSTART
	
             v_fmac_f32 v182, v212, v224 
             
	;;#ASMEND
	;;#ASMSTART
	
             v_fmac_f32 v183, v212, v225 
             
	;;#ASMEND
	;; [unrolled: 5-line block ×16, first 2 shown]
	s_waitcnt lgkmcnt(1)
	;;#ASMSTART
	
             v_fmac_f32 v178, v212, v228 
             
	;;#ASMEND
	;;#ASMSTART
	
             v_fmac_f32 v179, v212, v229 
             
	;;#ASMEND
	;; [unrolled: 5-line block ×16, first 2 shown]
	ds_load_b128 v[212:215], v192 offset:11264
	s_waitcnt lgkmcnt(1)
	;;#ASMSTART
	
             v_fmac_f32 v134, v240, v224 
             
	;;#ASMEND
	;;#ASMSTART
	
             v_fmac_f32 v145, v240, v225 
             
	;;#ASMEND
	;; [unrolled: 5-line block ×16, first 2 shown]
	ds_load_b128 v[224:227], v193 offset:27648
	;;#ASMSTART
	
             v_fmac_f32 v132, v240, v228 
             
	;;#ASMEND
	;;#ASMSTART
	
             v_fmac_f32 v133, v240, v229 
             
	;;#ASMEND
	;; [unrolled: 5-line block ×16, first 2 shown]
	ds_load_b128 v[228:231], v193 offset:27904
	ds_load_b128 v[240:243], v192 offset:11520
	s_waitcnt lgkmcnt(2)
	;;#ASMSTART
	
             v_fmac_f32 v182, v212, v224 
             
	;;#ASMEND
	;;#ASMSTART
	
             v_fmac_f32 v183, v212, v225 
             
	;;#ASMEND
	;; [unrolled: 5-line block ×16, first 2 shown]
	s_waitcnt lgkmcnt(1)
	;;#ASMSTART
	
             v_fmac_f32 v178, v212, v228 
             
	;;#ASMEND
	;;#ASMSTART
	
             v_fmac_f32 v179, v212, v229 
             
	;;#ASMEND
	;; [unrolled: 5-line block ×16, first 2 shown]
	ds_load_b128 v[212:215], v192 offset:11776
	s_waitcnt lgkmcnt(1)
	;;#ASMSTART
	
             v_fmac_f32 v134, v240, v224 
             
	;;#ASMEND
	;;#ASMSTART
	
             v_fmac_f32 v145, v240, v225 
             
	;;#ASMEND
	;; [unrolled: 5-line block ×16, first 2 shown]
	ds_load_b128 v[224:227], v193 offset:28160
	;;#ASMSTART
	
             v_fmac_f32 v132, v240, v228 
             
	;;#ASMEND
	;;#ASMSTART
	
             v_fmac_f32 v133, v240, v229 
             
	;;#ASMEND
	;; [unrolled: 5-line block ×16, first 2 shown]
	ds_load_b128 v[228:231], v193 offset:28416
	ds_load_b128 v[240:243], v192 offset:12032
	s_waitcnt lgkmcnt(2)
	;;#ASMSTART
	
             v_fmac_f32 v182, v212, v224 
             
	;;#ASMEND
	;;#ASMSTART
	
             v_fmac_f32 v183, v212, v225 
             
	;;#ASMEND
	;; [unrolled: 5-line block ×16, first 2 shown]
	s_waitcnt lgkmcnt(1)
	;;#ASMSTART
	
             v_fmac_f32 v178, v212, v228 
             
	;;#ASMEND
	;;#ASMSTART
	
             v_fmac_f32 v179, v212, v229 
             
	;;#ASMEND
	;; [unrolled: 5-line block ×16, first 2 shown]
	ds_load_b128 v[212:215], v192 offset:12288
	s_waitcnt lgkmcnt(1)
	;;#ASMSTART
	
             v_fmac_f32 v134, v240, v224 
             
	;;#ASMEND
	;;#ASMSTART
	
             v_fmac_f32 v145, v240, v225 
             
	;;#ASMEND
	;;#ASMSTART
	
             v_fmac_f32 v144, v240, v226 
             
	;;#ASMEND
	;;#ASMSTART
	
             v_fmac_f32 v135, v240, v227 
             
	;;#ASMEND
	;;#ASMSTART
	
             v_fmac_f32 v130, v241, v224 
             
	;;#ASMEND
	;;#ASMSTART
	
             v_fmac_f32 v129, v241, v225 
             
	;;#ASMEND
	;;#ASMSTART
	
             v_fmac_f32 v55, v241, v226 
             
	;;#ASMEND
	;;#ASMSTART
	
             v_fmac_f32 v54, v241, v227 
             
	;;#ASMEND
	;;#ASMSTART
	
             v_fmac_f32 v99, v242, v224 
             
	;;#ASMEND
	;;#ASMSTART
	
             v_fmac_f32 v98, v242, v225 
             
	;;#ASMEND
	;;#ASMSTART
	
             v_fmac_f32 v97, v242, v226 
             
	;;#ASMEND
	;;#ASMSTART
	
             v_fmac_f32 v96, v242, v227 
             
	;;#ASMEND
	;;#ASMSTART
	
             v_fmac_f32 v115, v243, v224 
             
	;;#ASMEND
	;;#ASMSTART
	
             v_fmac_f32 v114, v243, v225 
             
	;;#ASMEND
	;;#ASMSTART
	
             v_fmac_f32 v112, v243, v226 
             
	;;#ASMEND
	;;#ASMSTART
	
             v_fmac_f32 v113, v243, v227 
             
	;;#ASMEND
	ds_load_b128 v[224:227], v193 offset:28672
	;;#ASMSTART
	
             v_fmac_f32 v132, v240, v228 
             
	;;#ASMEND
	;;#ASMSTART
	
             v_fmac_f32 v133, v240, v229 
             
	;;#ASMEND
	;; [unrolled: 5-line block ×16, first 2 shown]
	ds_load_b128 v[228:231], v193 offset:28928
	ds_load_b128 v[240:243], v192 offset:12544
	s_waitcnt lgkmcnt(2)
	;;#ASMSTART
	
             v_fmac_f32 v182, v212, v224 
             
	;;#ASMEND
	;;#ASMSTART
	
             v_fmac_f32 v183, v212, v225 
             
	;;#ASMEND
	;; [unrolled: 5-line block ×16, first 2 shown]
	s_waitcnt lgkmcnt(1)
	;;#ASMSTART
	
             v_fmac_f32 v178, v212, v228 
             
	;;#ASMEND
	;;#ASMSTART
	
             v_fmac_f32 v179, v212, v229 
             
	;;#ASMEND
	;; [unrolled: 5-line block ×16, first 2 shown]
	ds_load_b128 v[212:215], v192 offset:12800
	s_waitcnt lgkmcnt(1)
	;;#ASMSTART
	
             v_fmac_f32 v134, v240, v224 
             
	;;#ASMEND
	;;#ASMSTART
	
             v_fmac_f32 v145, v240, v225 
             
	;;#ASMEND
	;; [unrolled: 5-line block ×16, first 2 shown]
	ds_load_b128 v[224:227], v193 offset:29184
	;;#ASMSTART
	
             v_fmac_f32 v132, v240, v228 
             
	;;#ASMEND
	;;#ASMSTART
	
             v_fmac_f32 v133, v240, v229 
             
	;;#ASMEND
	;; [unrolled: 5-line block ×16, first 2 shown]
	ds_load_b128 v[228:231], v193 offset:29440
	ds_load_b128 v[240:243], v192 offset:13056
	s_waitcnt lgkmcnt(2)
	;;#ASMSTART
	
             v_fmac_f32 v182, v212, v224 
             
	;;#ASMEND
	;;#ASMSTART
	
             v_fmac_f32 v183, v212, v225 
             
	;;#ASMEND
	;; [unrolled: 5-line block ×16, first 2 shown]
	s_waitcnt lgkmcnt(1)
	;;#ASMSTART
	
             v_fmac_f32 v178, v212, v228 
             
	;;#ASMEND
	;;#ASMSTART
	
             v_fmac_f32 v179, v212, v229 
             
	;;#ASMEND
	;; [unrolled: 5-line block ×16, first 2 shown]
	ds_load_b128 v[212:215], v192 offset:13312
	s_waitcnt lgkmcnt(1)
	;;#ASMSTART
	
             v_fmac_f32 v134, v240, v224 
             
	;;#ASMEND
	;;#ASMSTART
	
             v_fmac_f32 v145, v240, v225 
             
	;;#ASMEND
	;;#ASMSTART
	
             v_fmac_f32 v144, v240, v226 
             
	;;#ASMEND
	;;#ASMSTART
	
             v_fmac_f32 v135, v240, v227 
             
	;;#ASMEND
	;;#ASMSTART
	
             v_fmac_f32 v130, v241, v224 
             
	;;#ASMEND
	;;#ASMSTART
	
             v_fmac_f32 v129, v241, v225 
             
	;;#ASMEND
	;;#ASMSTART
	
             v_fmac_f32 v55, v241, v226 
             
	;;#ASMEND
	;;#ASMSTART
	
             v_fmac_f32 v54, v241, v227 
             
	;;#ASMEND
	;;#ASMSTART
	
             v_fmac_f32 v99, v242, v224 
             
	;;#ASMEND
	;;#ASMSTART
	
             v_fmac_f32 v98, v242, v225 
             
	;;#ASMEND
	;;#ASMSTART
	
             v_fmac_f32 v97, v242, v226 
             
	;;#ASMEND
	;;#ASMSTART
	
             v_fmac_f32 v96, v242, v227 
             
	;;#ASMEND
	;;#ASMSTART
	
             v_fmac_f32 v115, v243, v224 
             
	;;#ASMEND
	;;#ASMSTART
	
             v_fmac_f32 v114, v243, v225 
             
	;;#ASMEND
	;;#ASMSTART
	
             v_fmac_f32 v112, v243, v226 
             
	;;#ASMEND
	;;#ASMSTART
	
             v_fmac_f32 v113, v243, v227 
             
	;;#ASMEND
	ds_load_b128 v[224:227], v193 offset:29696
	;;#ASMSTART
	
             v_fmac_f32 v132, v240, v228 
             
	;;#ASMEND
	;;#ASMSTART
	
             v_fmac_f32 v133, v240, v229 
             
	;;#ASMEND
	;; [unrolled: 5-line block ×16, first 2 shown]
	ds_load_b128 v[228:231], v193 offset:29952
	ds_load_b128 v[240:243], v192 offset:13568
	s_waitcnt lgkmcnt(2)
	;;#ASMSTART
	
             v_fmac_f32 v182, v212, v224 
             
	;;#ASMEND
	;;#ASMSTART
	
             v_fmac_f32 v183, v212, v225 
             
	;;#ASMEND
	;; [unrolled: 5-line block ×16, first 2 shown]
	s_waitcnt lgkmcnt(1)
	;;#ASMSTART
	
             v_fmac_f32 v178, v212, v228 
             
	;;#ASMEND
	;;#ASMSTART
	
             v_fmac_f32 v179, v212, v229 
             
	;;#ASMEND
	;; [unrolled: 5-line block ×16, first 2 shown]
	ds_load_b128 v[212:215], v192 offset:13824
	s_waitcnt lgkmcnt(1)
	;;#ASMSTART
	
             v_fmac_f32 v134, v240, v224 
             
	;;#ASMEND
	;;#ASMSTART
	
             v_fmac_f32 v145, v240, v225 
             
	;;#ASMEND
	;; [unrolled: 5-line block ×16, first 2 shown]
	ds_load_b128 v[224:227], v193 offset:30208
	;;#ASMSTART
	
             v_fmac_f32 v132, v240, v228 
             
	;;#ASMEND
	;;#ASMSTART
	
             v_fmac_f32 v133, v240, v229 
             
	;;#ASMEND
	;; [unrolled: 5-line block ×16, first 2 shown]
	ds_load_b128 v[228:231], v193 offset:30464
	ds_load_b128 v[240:243], v192 offset:14080
	s_waitcnt lgkmcnt(2)
	;;#ASMSTART
	
             v_fmac_f32 v182, v212, v224 
             
	;;#ASMEND
	;;#ASMSTART
	
             v_fmac_f32 v183, v212, v225 
             
	;;#ASMEND
	;; [unrolled: 5-line block ×16, first 2 shown]
	s_waitcnt lgkmcnt(1)
	;;#ASMSTART
	
             v_fmac_f32 v178, v212, v228 
             
	;;#ASMEND
	;;#ASMSTART
	
             v_fmac_f32 v179, v212, v229 
             
	;;#ASMEND
	;;#ASMSTART
	
             v_fmac_f32 v176, v212, v230 
             
	;;#ASMEND
	;;#ASMSTART
	
             v_fmac_f32 v177, v212, v231 
             
	;;#ASMEND
	;;#ASMSTART
	
             v_fmac_f32 v162, v213, v228 
             
	;;#ASMEND
	;;#ASMSTART
	
             v_fmac_f32 v163, v213, v229 
             
	;;#ASMEND
	;;#ASMSTART
	
             v_fmac_f32 v68, v213, v230 
             
	;;#ASMEND
	;;#ASMSTART
	
             v_fmac_f32 v71, v213, v231 
             
	;;#ASMEND
	;;#ASMSTART
	
             v_fmac_f32 v66, v214, v228 
             
	;;#ASMEND
	;;#ASMSTART
	
             v_fmac_f32 v67, v214, v229 
             
	;;#ASMEND
	;;#ASMSTART
	
             v_fmac_f32 v64, v214, v230 
             
	;;#ASMEND
	;;#ASMSTART
	
             v_fmac_f32 v65, v214, v231 
             
	;;#ASMEND
	;;#ASMSTART
	
             v_fmac_f32 v83, v215, v228 
             
	;;#ASMEND
	;;#ASMSTART
	
             v_fmac_f32 v82, v215, v229 
             
	;;#ASMEND
	;;#ASMSTART
	
             v_fmac_f32 v80, v215, v230 
             
	;;#ASMEND
	;;#ASMSTART
	
             v_fmac_f32 v81, v215, v231 
             
	;;#ASMEND
	ds_load_b128 v[212:215], v192 offset:14336
	s_waitcnt lgkmcnt(1)
	;;#ASMSTART
	
             v_fmac_f32 v134, v240, v224 
             
	;;#ASMEND
	;;#ASMSTART
	
             v_fmac_f32 v145, v240, v225 
             
	;;#ASMEND
	;; [unrolled: 5-line block ×16, first 2 shown]
	ds_load_b128 v[224:227], v193 offset:30720
	;;#ASMSTART
	
             v_fmac_f32 v132, v240, v228 
             
	;;#ASMEND
	;;#ASMSTART
	
             v_fmac_f32 v133, v240, v229 
             
	;;#ASMEND
	;; [unrolled: 5-line block ×16, first 2 shown]
	ds_load_b128 v[228:231], v193 offset:30976
	ds_load_b128 v[240:243], v192 offset:14592
	s_waitcnt lgkmcnt(2)
	;;#ASMSTART
	
             v_fmac_f32 v182, v212, v224 
             
	;;#ASMEND
	;;#ASMSTART
	
             v_fmac_f32 v183, v212, v225 
             
	;;#ASMEND
	;; [unrolled: 5-line block ×16, first 2 shown]
	s_waitcnt lgkmcnt(1)
	;;#ASMSTART
	
             v_fmac_f32 v178, v212, v228 
             
	;;#ASMEND
	;;#ASMSTART
	
             v_fmac_f32 v179, v212, v229 
             
	;;#ASMEND
	;; [unrolled: 5-line block ×16, first 2 shown]
	ds_load_b128 v[212:215], v192 offset:14848
	s_waitcnt lgkmcnt(1)
	;;#ASMSTART
	
             v_fmac_f32 v134, v240, v224 
             
	;;#ASMEND
	;;#ASMSTART
	
             v_fmac_f32 v145, v240, v225 
             
	;;#ASMEND
	;; [unrolled: 5-line block ×16, first 2 shown]
	ds_load_b128 v[224:227], v193 offset:31232
	;;#ASMSTART
	
             v_fmac_f32 v132, v240, v228 
             
	;;#ASMEND
	;;#ASMSTART
	
             v_fmac_f32 v133, v240, v229 
             
	;;#ASMEND
	;; [unrolled: 5-line block ×16, first 2 shown]
	ds_load_b128 v[228:231], v193 offset:31488
	ds_load_b128 v[240:243], v192 offset:15104
	s_waitcnt lgkmcnt(2)
	;;#ASMSTART
	
             v_fmac_f32 v182, v212, v224 
             
	;;#ASMEND
	;;#ASMSTART
	
             v_fmac_f32 v183, v212, v225 
             
	;;#ASMEND
	;; [unrolled: 5-line block ×16, first 2 shown]
	s_waitcnt lgkmcnt(1)
	;;#ASMSTART
	
             v_fmac_f32 v178, v212, v228 
             
	;;#ASMEND
	;;#ASMSTART
	
             v_fmac_f32 v179, v212, v229 
             
	;;#ASMEND
	;; [unrolled: 5-line block ×16, first 2 shown]
	ds_load_b128 v[212:215], v192 offset:15360
	s_waitcnt lgkmcnt(1)
	;;#ASMSTART
	
             v_fmac_f32 v134, v240, v224 
             
	;;#ASMEND
	;;#ASMSTART
	
             v_fmac_f32 v145, v240, v225 
             
	;;#ASMEND
	;; [unrolled: 5-line block ×16, first 2 shown]
	ds_load_b128 v[224:227], v193 offset:31744
	;;#ASMSTART
	
             v_fmac_f32 v132, v240, v228 
             
	;;#ASMEND
	;;#ASMSTART
	
             v_fmac_f32 v133, v240, v229 
             
	;;#ASMEND
	;; [unrolled: 5-line block ×16, first 2 shown]
	ds_load_b128 v[228:231], v193 offset:32000
	ds_load_b128 v[240:243], v192 offset:15616
	s_waitcnt lgkmcnt(2)
	;;#ASMSTART
	
             v_fmac_f32 v182, v212, v224 
             
	;;#ASMEND
	;;#ASMSTART
	
             v_fmac_f32 v183, v212, v225 
             
	;;#ASMEND
	;; [unrolled: 5-line block ×16, first 2 shown]
	s_waitcnt lgkmcnt(1)
	;;#ASMSTART
	
             v_fmac_f32 v178, v212, v228 
             
	;;#ASMEND
	;;#ASMSTART
	
             v_fmac_f32 v179, v212, v229 
             
	;;#ASMEND
	;; [unrolled: 5-line block ×16, first 2 shown]
	ds_load_b128 v[212:215], v192 offset:15872
	s_waitcnt lgkmcnt(1)
	;;#ASMSTART
	
             v_fmac_f32 v134, v240, v224 
             
	;;#ASMEND
	;;#ASMSTART
	
             v_fmac_f32 v145, v240, v225 
             
	;;#ASMEND
	;;#ASMSTART
	
             v_fmac_f32 v144, v240, v226 
             
	;;#ASMEND
	;;#ASMSTART
	
             v_fmac_f32 v135, v240, v227 
             
	;;#ASMEND
	;;#ASMSTART
	
             v_fmac_f32 v130, v241, v224 
             
	;;#ASMEND
	;;#ASMSTART
	
             v_fmac_f32 v129, v241, v225 
             
	;;#ASMEND
	;;#ASMSTART
	
             v_fmac_f32 v55, v241, v226 
             
	;;#ASMEND
	;;#ASMSTART
	
             v_fmac_f32 v54, v241, v227 
             
	;;#ASMEND
	;;#ASMSTART
	
             v_fmac_f32 v99, v242, v224 
             
	;;#ASMEND
	;;#ASMSTART
	
             v_fmac_f32 v98, v242, v225 
             
	;;#ASMEND
	;;#ASMSTART
	
             v_fmac_f32 v97, v242, v226 
             
	;;#ASMEND
	;;#ASMSTART
	
             v_fmac_f32 v96, v242, v227 
             
	;;#ASMEND
	;;#ASMSTART
	
             v_fmac_f32 v115, v243, v224 
             
	;;#ASMEND
	;;#ASMSTART
	
             v_fmac_f32 v114, v243, v225 
             
	;;#ASMEND
	;;#ASMSTART
	
             v_fmac_f32 v112, v243, v226 
             
	;;#ASMEND
	;;#ASMSTART
	
             v_fmac_f32 v113, v243, v227 
             
	;;#ASMEND
	ds_load_b128 v[224:227], v193 offset:32256
	;;#ASMSTART
	
             v_fmac_f32 v132, v240, v228 
             
	;;#ASMEND
	;;#ASMSTART
	
             v_fmac_f32 v133, v240, v229 
             
	;;#ASMEND
	;; [unrolled: 5-line block ×8, first 2 shown]
	v_dual_cndmask_b32 v240, 0, v17 :: v_dual_cndmask_b32 v241, 0, v16
	v_cmp_ge_i32_e32 vcc_lo, s11, v198
	;;#ASMSTART
	
             v_fmac_f32 v102, v242, v228 
             
	;;#ASMEND
	;;#ASMSTART
	
             v_fmac_f32 v103, v242, v229 
             
	;;#ASMEND
	;; [unrolled: 5-line block ×4, first 2 shown]
	s_or_b32 s10, vcc_lo, s10
	;;#ASMSTART
	
             v_fmac_f32 v119, v243, v228 
             
	;;#ASMEND
	;;#ASMSTART
	
             v_fmac_f32 v117, v243, v229 
             
	;;#ASMEND
	;; [unrolled: 5-line block ×4, first 2 shown]
	ds_load_b128 v[228:231], v193 offset:32512
	ds_load_b128 v[16:19], v192 offset:16128
	s_waitcnt lgkmcnt(2)
	;;#ASMSTART
	
             v_fmac_f32 v182, v212, v224 
             
	;;#ASMEND
	;;#ASMSTART
	
             v_fmac_f32 v183, v212, v225 
             
	;;#ASMEND
	;; [unrolled: 5-line block ×16, first 2 shown]
	s_waitcnt lgkmcnt(1)
	;;#ASMSTART
	
             v_fmac_f32 v178, v212, v228 
             
	;;#ASMEND
	;;#ASMSTART
	
             v_fmac_f32 v179, v212, v229 
             
	;;#ASMEND
	;; [unrolled: 5-line block ×16, first 2 shown]
	s_waitcnt lgkmcnt(0)
	;;#ASMSTART
	
             v_fmac_f32 v134, v16, v224 
             
	;;#ASMEND
	;;#ASMSTART
	
             v_fmac_f32 v145, v16, v225 
             
	;;#ASMEND
	;; [unrolled: 5-line block ×32, first 2 shown]
	ds_store_2addr_stride64_b32 v194, v38, v37 offset1:2
	ds_store_2addr_stride64_b32 v194, v28, v27 offset0:4 offset1:6
	ds_store_2addr_stride64_b32 v194, v49, v48 offset0:8 offset1:10
	;; [unrolled: 1-line block ×6, first 2 shown]
	ds_store_b32 v194, v52 offset:16384
	ds_store_b32 v0, v244 offset:3584
	s_and_not1_b32 exec_lo, exec_lo, s10
	s_cbranch_execnz .LBB13_9
; %bb.26:
	s_or_b32 exec_lo, exec_lo, s10
	s_clause 0x7
	flat_load_b32 v0, v[8:9] offset:276
	flat_load_b96 v[48:50], v[8:9] offset:212
	flat_load_b96 v[224:226], v[8:9] offset:228
	flat_load_b96 v[227:229], v[8:9] offset:196
	flat_load_b32 v53, v[8:9] offset:128
	flat_load_b32 v198, v[8:9] offset:112
	;; [unrolled: 1-line block ×3, first 2 shown]
	flat_load_b128 v[212:215], v[8:9] offset:24
	flat_load_b32 v38, v[10:11] offset:48
	s_waitcnt vmcnt(0) lgkmcnt(0)
	s_barrier
	s_clause 0x4
	flat_load_b32 v52, v[8:9] offset:248
	flat_load_b32 v231, v[8:9] offset:76
	flat_load_b128 v[16:19], v[8:9] offset:60
	flat_load_b128 v[26:29], v[8:9] offset:44
	flat_load_b32 v37, v[8:9] offset:260
	v_mul_lo_u32 v240, v0, 12
	s_waitcnt vmcnt(4) lgkmcnt(4)
	v_cmp_lt_i32_e32 vcc_lo, v1, v52
	s_delay_alu instid0(VALU_DEP_2) | instskip(SKIP_1) | instid1(VALU_DEP_2)
	v_add_nc_u32_e32 v51, v240, v211
	v_add_nc_u32_e32 v52, v240, v36
	v_mul_hi_u32 v0, v51, v50
	s_waitcnt vmcnt(0) lgkmcnt(0)
	s_delay_alu instid0(VALU_DEP_2) | instskip(NEXT) | instid1(VALU_DEP_2)
	v_cmp_lt_i32_e64 s0, v52, v37
	v_add_nc_u32_e32 v0, v51, v0
	s_delay_alu instid0(VALU_DEP_1) | instskip(NEXT) | instid1(VALU_DEP_1)
	v_lshrrev_b32_e32 v0, v226, v0
	v_mul_hi_u32 v49, v0, v49
	v_mul_lo_u32 v226, v0, v229
	s_delay_alu instid0(VALU_DEP_2) | instskip(NEXT) | instid1(VALU_DEP_2)
	v_add_nc_u32_e32 v49, v0, v49
	v_sub_nc_u32_e32 v1, v51, v226
	s_delay_alu instid0(VALU_DEP_2) | instskip(NEXT) | instid1(VALU_DEP_1)
	v_lshrrev_b32_e32 v211, v225, v49
	v_mul_hi_u32 v48, v211, v48
	v_mul_lo_u32 v49, v211, v228
	s_delay_alu instid0(VALU_DEP_2) | instskip(NEXT) | instid1(VALU_DEP_2)
	v_add_nc_u32_e32 v48, v211, v48
	v_sub_nc_u32_e32 v0, v0, v49
	v_sub_nc_u32_e32 v49, v18, v231
	s_delay_alu instid0(VALU_DEP_3)
	v_lshrrev_b32_e32 v50, v224, v48
	v_mul_lo_u32 v224, v38, 12
	v_sub_nc_u32_e32 v38, v29, v17
	v_sub_nc_u32_e32 v18, v0, v209
	;; [unrolled: 1-line block ×3, first 2 shown]
	v_mul_lo_u32 v225, v50, v227
	v_sub_nc_u32_e32 v26, v50, v199
	v_sub_nc_u32_e32 v29, v1, v210
	v_mul_lo_u32 v18, v18, v53
	v_add_nc_u32_e32 v36, v224, v33
	v_add_nc_u32_e32 v33, v224, v35
	v_mul_lo_u32 v26, v26, v230
	v_mul_lo_u32 v29, v215, v29
	v_sub_nc_u32_e32 v17, v211, v225
	v_add_nc_u32_e32 v32, v18, v32
	v_mul_lo_u32 v18, v18, v214
	s_delay_alu instid0(VALU_DEP_3)
	v_sub_nc_u32_e32 v28, v17, v208
	v_add_nc_u32_e32 v34, v26, v34
	v_mul_lo_u32 v26, v26, v212
	v_cmp_le_i32_e64 s1, v19, v32
	v_cmp_gt_i32_e64 s2, v49, v32
	v_mul_lo_u32 v28, v28, v198
	v_cmp_le_i32_e64 s3, v27, v34
	v_add3_u32 v18, v29, v31, v18
	v_cmp_gt_i32_e64 s6, v48, v34
	s_and_b32 s1, s1, s2
	s_delay_alu instid0(SALU_CYCLE_1) | instskip(NEXT) | instid1(VALU_DEP_1)
	s_and_b32 s0, s0, s1
	s_and_b32 s2, s3, s6
	s_delay_alu instid0(VALU_DEP_4) | instskip(SKIP_2) | instid1(VALU_DEP_2)
	v_add_nc_u32_e32 v35, v28, v30
	v_mul_lo_u32 v28, v28, v213
	s_mov_b32 s3, exec_lo
	v_cmp_le_i32_e64 s4, v16, v35
	v_cmp_gt_i32_e64 s5, v38, v35
	s_delay_alu instid0(VALU_DEP_3) | instskip(NEXT) | instid1(VALU_DEP_2)
	v_add3_u32 v18, v18, v26, v28
	s_and_b32 s1, s4, s5
	s_delay_alu instid0(SALU_CYCLE_1) | instskip(NEXT) | instid1(VALU_DEP_1)
	s_and_b32 s0, s0, s1
	v_lshlrev_b32_e32 v26, 2, v18
	s_and_b32 s0, s0, s2
	s_delay_alu instid0(SALU_CYCLE_1)
	s_and_b32 s0, vcc_lo, s0
.LBB13_27:                              ; =>This Inner Loop Header: Depth=1
	v_readfirstlane_b32 s4, v22
	v_readfirstlane_b32 s5, v23
	;; [unrolled: 1-line block ×4, first 2 shown]
	s_delay_alu instid0(VALU_DEP_3) | instskip(NEXT) | instid1(VALU_DEP_2)
	v_cmp_eq_u64_e64 s1, s[4:5], v[22:23]
	v_cmp_eq_u64_e64 s2, s[6:7], v[24:25]
	s_delay_alu instid0(VALU_DEP_1) | instskip(NEXT) | instid1(SALU_CYCLE_1)
	s_and_b32 s1, s1, s2
	s_and_saveexec_b32 s1, s1
	buffer_load_b128 v[28:31], v26, s[4:7], 0 offen
                                        ; implicit-def: $vgpr26
	s_xor_b32 exec_lo, exec_lo, s1
	s_cbranch_execnz .LBB13_27
; %bb.28:
	s_mov_b32 exec_lo, s3
	s_clause 0x7
	flat_load_b32 v26, v[8:9] offset:276
	flat_load_b96 v[212:214], v[8:9] offset:212
	flat_load_b96 v[224:226], v[8:9] offset:228
	;; [unrolled: 1-line block ×3, first 2 shown]
	flat_load_b32 v53, v[8:9] offset:128
	flat_load_b32 v215, v[8:9] offset:96
	;; [unrolled: 1-line block ×3, first 2 shown]
	flat_load_b128 v[208:211], v[8:9] offset:24
	s_waitcnt vmcnt(8)
	v_cndmask_b32_e64 v28, 0, v28, s0
	s_waitcnt vmcnt(7) lgkmcnt(7)
	v_lshlrev_b32_e32 v231, 2, v26
	s_delay_alu instid0(VALU_DEP_1) | instskip(SKIP_1) | instid1(VALU_DEP_1)
	v_add_nc_u32_e32 v51, v231, v51
	s_waitcnt vmcnt(6) lgkmcnt(6)
	v_mul_hi_u32 v8, v51, v214
	s_delay_alu instid0(VALU_DEP_1) | instskip(SKIP_1) | instid1(VALU_DEP_1)
	v_add_nc_u32_e32 v8, v51, v8
	s_waitcnt vmcnt(5) lgkmcnt(5)
	v_lshrrev_b32_e32 v214, v226, v8
	s_delay_alu instid0(VALU_DEP_1) | instskip(NEXT) | instid1(VALU_DEP_1)
	v_mul_hi_u32 v8, v214, v213
	v_add_nc_u32_e32 v8, v214, v8
	s_delay_alu instid0(VALU_DEP_1) | instskip(NEXT) | instid1(VALU_DEP_1)
	v_lshrrev_b32_e32 v213, v225, v8
	v_mul_hi_u32 v8, v213, v212
	s_delay_alu instid0(VALU_DEP_1) | instskip(SKIP_3) | instid1(VALU_DEP_3)
	v_add_nc_u32_e32 v26, v213, v8
	s_waitcnt vmcnt(4) lgkmcnt(4)
	v_mad_u64_u32 v[8:9], null, v213, v228, v[0:1]
	v_cndmask_b32_e64 v0, 0, v31, s0
	v_lshrrev_b32_e32 v212, v224, v26
	v_cndmask_b32_e64 v26, 0, v30, s0
	v_add_nc_u32_e32 v30, v231, v52
	s_delay_alu instid0(VALU_DEP_3)
	v_mad_u64_u32 v[198:199], null, v212, v227, v[17:18]
	v_sub_nc_u32_e32 v17, v214, v8
	v_mad_u64_u32 v[8:9], null, v214, v229, v[1:2]
	v_cndmask_b32_e64 v1, 0, v29, s0
	v_sub_nc_u32_e32 v9, v212, v50
	s_waitcnt vmcnt(3) lgkmcnt(3)
	v_mul_lo_u32 v17, v17, v53
	v_sub_nc_u32_e32 v29, v213, v198
	v_cmp_lt_i32_e64 s0, v30, v37
	s_waitcnt vmcnt(2) lgkmcnt(2)
	v_mul_lo_u32 v31, v9, v215
	v_sub_nc_u32_e32 v50, v51, v8
	s_waitcnt vmcnt(1) lgkmcnt(1)
	v_mul_lo_u32 v29, v29, v230
	v_add_nc_u32_e32 v30, v17, v32
	s_waitcnt vmcnt(0) lgkmcnt(0)
	v_mad_u64_u32 v[8:9], null, v211, v50, v[18:19]
	v_mul_lo_u32 v9, v17, v210
	v_add_nc_u32_e32 v17, v31, v34
	v_cmp_le_i32_e64 s1, v19, v30
	v_add_nc_u32_e32 v18, v29, v35
	v_mul_lo_u32 v19, v31, v208
	v_cmp_gt_i32_e64 s2, v49, v30
	v_cmp_le_i32_e64 s3, v27, v17
	v_mul_lo_u32 v27, v29, v209
	v_cmp_le_i32_e64 s4, v16, v18
	v_cmp_gt_i32_e64 s5, v38, v18
	v_cmp_gt_i32_e64 s6, v48, v17
	s_and_b32 s1, s1, s2
	v_add3_u32 v8, v8, v9, v19
	s_and_b32 s0, s0, s1
	s_and_b32 s1, s4, s5
	;; [unrolled: 1-line block ×4, first 2 shown]
	v_add_lshl_u32 v8, v8, v27, 2
	s_and_b32 s0, s2, s0
	s_mov_b32 s2, exec_lo
	s_and_b32 s0, vcc_lo, s0
.LBB13_29:                              ; =>This Inner Loop Header: Depth=1
	v_readfirstlane_b32 s4, v22
	v_readfirstlane_b32 s5, v23
	;; [unrolled: 1-line block ×4, first 2 shown]
	s_delay_alu instid0(VALU_DEP_3) | instskip(NEXT) | instid1(VALU_DEP_2)
	v_cmp_eq_u64_e32 vcc_lo, s[4:5], v[22:23]
	v_cmp_eq_u64_e64 s1, s[6:7], v[24:25]
	s_delay_alu instid0(VALU_DEP_1) | instskip(NEXT) | instid1(SALU_CYCLE_1)
	s_and_b32 s1, vcc_lo, s1
	s_and_saveexec_b32 s1, s1
	buffer_load_b128 v[16:19], v8, s[4:7], 0 offen
                                        ; implicit-def: $vgpr22_vgpr23_vgpr24_vgpr25
                                        ; implicit-def: $vgpr8
	s_xor_b32 exec_lo, exec_lo, s1
	s_cbranch_execnz .LBB13_29
; %bb.30:
	s_mov_b32 exec_lo, s2
	s_clause 0x1
	flat_load_b32 v8, v[10:11] offset:32
	flat_load_b32 v9, v[10:11] offset:20
	s_waitcnt vmcnt(2)
	v_cndmask_b32_e64 v22, 0, v19, s0
	v_cndmask_b32_e64 v23, 0, v18, s0
	;; [unrolled: 1-line block ×4, first 2 shown]
	s_mov_b32 s3, exec_lo
	s_waitcnt vmcnt(1) lgkmcnt(1)
	v_cmp_gt_i32_e64 s1, v8, v36
	s_waitcnt vmcnt(0) lgkmcnt(0)
	v_cmp_gt_i32_e32 vcc_lo, v9, v197
	v_lshlrev_b32_e32 v9, 2, v33
	s_delay_alu instid0(VALU_DEP_3)
	s_and_b32 s0, vcc_lo, s1
.LBB13_31:                              ; =>This Inner Loop Header: Depth=1
	v_readfirstlane_b32 s4, v2
	v_readfirstlane_b32 s5, v3
	;; [unrolled: 1-line block ×4, first 2 shown]
	s_delay_alu instid0(VALU_DEP_3) | instskip(NEXT) | instid1(VALU_DEP_2)
	v_cmp_eq_u64_e64 s1, s[4:5], v[2:3]
	v_cmp_eq_u64_e64 s2, s[6:7], v[4:5]
	s_delay_alu instid0(VALU_DEP_1) | instskip(NEXT) | instid1(SALU_CYCLE_1)
	s_and_b32 s1, s1, s2
	s_and_saveexec_b32 s1, s1
	buffer_load_b128 v[16:19], v9, s[4:7], 0 offen
                                        ; implicit-def: $vgpr9
	s_xor_b32 exec_lo, exec_lo, s1
	s_cbranch_execnz .LBB13_31
; %bb.32:
	s_mov_b32 exec_lo, s3
	flat_load_b32 v9, v[10:11] offset:48
	s_waitcnt vmcnt(1)
	v_cndmask_b32_e64 v19, 0, v19, s0
	v_cndmask_b32_e64 v18, 0, v18, s0
	;; [unrolled: 1-line block ×4, first 2 shown]
	s_mov_b32 s2, exec_lo
	s_waitcnt vmcnt(0) lgkmcnt(0)
	v_lshlrev_b32_e32 v9, 2, v9
	s_delay_alu instid0(VALU_DEP_1) | instskip(SKIP_1) | instid1(VALU_DEP_2)
	v_add_nc_u32_e32 v10, v9, v36
	v_add_lshl_u32 v27, v9, v33, 2
	v_cmp_gt_i32_e64 s1, v8, v10
	s_delay_alu instid0(VALU_DEP_1)
	s_and_b32 vcc_lo, vcc_lo, s1
.LBB13_33:                              ; =>This Inner Loop Header: Depth=1
	v_readfirstlane_b32 s4, v2
	v_readfirstlane_b32 s5, v3
	;; [unrolled: 1-line block ×4, first 2 shown]
	s_delay_alu instid0(VALU_DEP_3) | instskip(NEXT) | instid1(VALU_DEP_2)
	v_cmp_eq_u64_e64 s0, s[4:5], v[2:3]
	v_cmp_eq_u64_e64 s1, s[6:7], v[4:5]
	s_delay_alu instid0(VALU_DEP_1) | instskip(NEXT) | instid1(SALU_CYCLE_1)
	s_and_b32 s0, s0, s1
	s_and_saveexec_b32 s0, s0
	buffer_load_b128 v[8:11], v27, s[4:7], 0 offen
                                        ; implicit-def: $vgpr2_vgpr3_vgpr4_vgpr5
                                        ; implicit-def: $vgpr27
	s_xor_b32 exec_lo, exec_lo, s0
	s_cbranch_execnz .LBB13_33
; %bb.34:
	s_mov_b32 exec_lo, s2
	ds_load_b128 v[2:5], v192
	ds_load_b128 v[29:32], v193 offset:16384
	ds_load_b128 v[33:36], v193 offset:16640
	;; [unrolled: 1-line block ×3, first 2 shown]
	s_waitcnt vmcnt(0)
	v_dual_cndmask_b32 v27, 0, v11 :: v_dual_cndmask_b32 v38, 0, v9
	v_cndmask_b32_e32 v37, 0, v10, vcc_lo
	s_waitcnt lgkmcnt(2)
	;;#ASMSTART
	
             v_fmac_f32 v182, v2, v29 
             
	;;#ASMEND
	;;#ASMSTART
	
             v_fmac_f32 v183, v2, v30 
             
	;;#ASMEND
	;; [unrolled: 5-line block ×16, first 2 shown]
	s_waitcnt lgkmcnt(1)
	;;#ASMSTART
	
             v_fmac_f32 v178, v2, v33 
             
	;;#ASMEND
	;;#ASMSTART
	
             v_fmac_f32 v179, v2, v34 
             
	;;#ASMEND
	;; [unrolled: 5-line block ×16, first 2 shown]
	ds_load_b128 v[2:5], v192 offset:512
	s_waitcnt lgkmcnt(1)
	;;#ASMSTART
	
             v_fmac_f32 v134, v48, v29 
             
	;;#ASMEND
	;;#ASMSTART
	
             v_fmac_f32 v145, v48, v30 
             
	;;#ASMEND
	;; [unrolled: 5-line block ×16, first 2 shown]
	ds_load_b128 v[29:32], v193 offset:16896
	;;#ASMSTART
	
             v_fmac_f32 v132, v48, v33 
             
	;;#ASMEND
	;;#ASMSTART
	
             v_fmac_f32 v133, v48, v34 
             
	;;#ASMEND
	;; [unrolled: 5-line block ×16, first 2 shown]
	ds_load_b128 v[33:36], v193 offset:17152
	ds_load_b128 v[48:51], v192 offset:768
	s_waitcnt lgkmcnt(2)
	;;#ASMSTART
	
             v_fmac_f32 v182, v2, v29 
             
	;;#ASMEND
	;;#ASMSTART
	
             v_fmac_f32 v183, v2, v30 
             
	;;#ASMEND
	;; [unrolled: 5-line block ×16, first 2 shown]
	s_waitcnt lgkmcnt(1)
	;;#ASMSTART
	
             v_fmac_f32 v178, v2, v33 
             
	;;#ASMEND
	;;#ASMSTART
	
             v_fmac_f32 v179, v2, v34 
             
	;;#ASMEND
	;; [unrolled: 5-line block ×16, first 2 shown]
	ds_load_b128 v[2:5], v192 offset:1024
	s_waitcnt lgkmcnt(1)
	;;#ASMSTART
	
             v_fmac_f32 v134, v48, v29 
             
	;;#ASMEND
	;;#ASMSTART
	
             v_fmac_f32 v145, v48, v30 
             
	;;#ASMEND
	;; [unrolled: 5-line block ×16, first 2 shown]
	ds_load_b128 v[29:32], v193 offset:17408
	;;#ASMSTART
	
             v_fmac_f32 v132, v48, v33 
             
	;;#ASMEND
	;;#ASMSTART
	
             v_fmac_f32 v133, v48, v34 
             
	;;#ASMEND
	;; [unrolled: 5-line block ×16, first 2 shown]
	ds_load_b128 v[33:36], v193 offset:17664
	ds_load_b128 v[48:51], v192 offset:1280
	s_waitcnt lgkmcnt(2)
	;;#ASMSTART
	
             v_fmac_f32 v182, v2, v29 
             
	;;#ASMEND
	;;#ASMSTART
	
             v_fmac_f32 v183, v2, v30 
             
	;;#ASMEND
	;;#ASMSTART
	
             v_fmac_f32 v180, v2, v31 
             
	;;#ASMEND
	;;#ASMSTART
	
             v_fmac_f32 v181, v2, v32 
             
	;;#ASMEND
	;;#ASMSTART
	
             v_fmac_f32 v167, v3, v29 
             
	;;#ASMEND
	;;#ASMSTART
	
             v_fmac_f32 v166, v3, v30 
             
	;;#ASMEND
	;;#ASMSTART
	
             v_fmac_f32 v165, v3, v31 
             
	;;#ASMEND
	;;#ASMSTART
	
             v_fmac_f32 v164, v3, v32 
             
	;;#ASMEND
	;;#ASMSTART
	
             v_fmac_f32 v161, v4, v29 
             
	;;#ASMEND
	;;#ASMSTART
	
             v_fmac_f32 v160, v4, v30 
             
	;;#ASMEND
	;;#ASMSTART
	
             v_fmac_f32 v151, v4, v31 
             
	;;#ASMEND
	;;#ASMSTART
	
             v_fmac_f32 v150, v4, v32 
             
	;;#ASMEND
	;;#ASMSTART
	
             v_fmac_f32 v149, v5, v29 
             
	;;#ASMEND
	;;#ASMSTART
	
             v_fmac_f32 v148, v5, v30 
             
	;;#ASMEND
	;;#ASMSTART
	
             v_fmac_f32 v147, v5, v31 
             
	;;#ASMEND
	;;#ASMSTART
	
             v_fmac_f32 v146, v5, v32 
             
	;;#ASMEND
	s_waitcnt lgkmcnt(1)
	;;#ASMSTART
	
             v_fmac_f32 v178, v2, v33 
             
	;;#ASMEND
	;;#ASMSTART
	
             v_fmac_f32 v179, v2, v34 
             
	;;#ASMEND
	;;#ASMSTART
	
             v_fmac_f32 v176, v2, v35 
             
	;;#ASMEND
	;;#ASMSTART
	
             v_fmac_f32 v177, v2, v36 
             
	;;#ASMEND
	;;#ASMSTART
	
             v_fmac_f32 v162, v3, v33 
             
	;;#ASMEND
	;;#ASMSTART
	
             v_fmac_f32 v163, v3, v34 
             
	;;#ASMEND
	;;#ASMSTART
	
             v_fmac_f32 v68, v3, v35 
             
	;;#ASMEND
	;;#ASMSTART
	
             v_fmac_f32 v71, v3, v36 
             
	;;#ASMEND
	;;#ASMSTART
	
             v_fmac_f32 v66, v4, v33 
             
	;;#ASMEND
	;;#ASMSTART
	
             v_fmac_f32 v67, v4, v34 
             
	;;#ASMEND
	;;#ASMSTART
	
             v_fmac_f32 v64, v4, v35 
             
	;;#ASMEND
	;;#ASMSTART
	
             v_fmac_f32 v65, v4, v36 
             
	;;#ASMEND
	;;#ASMSTART
	
             v_fmac_f32 v83, v5, v33 
             
	;;#ASMEND
	;;#ASMSTART
	
             v_fmac_f32 v82, v5, v34 
             
	;;#ASMEND
	;;#ASMSTART
	
             v_fmac_f32 v80, v5, v35 
             
	;;#ASMEND
	;;#ASMSTART
	
             v_fmac_f32 v81, v5, v36 
             
	;;#ASMEND
	ds_load_b128 v[2:5], v192 offset:1536
	s_waitcnt lgkmcnt(1)
	;;#ASMSTART
	
             v_fmac_f32 v134, v48, v29 
             
	;;#ASMEND
	;;#ASMSTART
	
             v_fmac_f32 v145, v48, v30 
             
	;;#ASMEND
	;; [unrolled: 5-line block ×16, first 2 shown]
	ds_load_b128 v[29:32], v193 offset:17920
	;;#ASMSTART
	
             v_fmac_f32 v132, v48, v33 
             
	;;#ASMEND
	;;#ASMSTART
	
             v_fmac_f32 v133, v48, v34 
             
	;;#ASMEND
	;; [unrolled: 5-line block ×16, first 2 shown]
	ds_load_b128 v[33:36], v193 offset:18176
	ds_load_b128 v[48:51], v192 offset:1792
	s_waitcnt lgkmcnt(2)
	;;#ASMSTART
	
             v_fmac_f32 v182, v2, v29 
             
	;;#ASMEND
	;;#ASMSTART
	
             v_fmac_f32 v183, v2, v30 
             
	;;#ASMEND
	;; [unrolled: 5-line block ×16, first 2 shown]
	s_waitcnt lgkmcnt(1)
	;;#ASMSTART
	
             v_fmac_f32 v178, v2, v33 
             
	;;#ASMEND
	;;#ASMSTART
	
             v_fmac_f32 v179, v2, v34 
             
	;;#ASMEND
	;; [unrolled: 5-line block ×16, first 2 shown]
	ds_load_b128 v[2:5], v192 offset:2048
	s_waitcnt lgkmcnt(1)
	;;#ASMSTART
	
             v_fmac_f32 v134, v48, v29 
             
	;;#ASMEND
	;;#ASMSTART
	
             v_fmac_f32 v145, v48, v30 
             
	;;#ASMEND
	;; [unrolled: 5-line block ×16, first 2 shown]
	ds_load_b128 v[29:32], v193 offset:18432
	;;#ASMSTART
	
             v_fmac_f32 v132, v48, v33 
             
	;;#ASMEND
	;;#ASMSTART
	
             v_fmac_f32 v133, v48, v34 
             
	;;#ASMEND
	;; [unrolled: 5-line block ×16, first 2 shown]
	ds_load_b128 v[33:36], v193 offset:18688
	ds_load_b128 v[48:51], v192 offset:2304
	s_waitcnt lgkmcnt(2)
	;;#ASMSTART
	
             v_fmac_f32 v182, v2, v29 
             
	;;#ASMEND
	;;#ASMSTART
	
             v_fmac_f32 v183, v2, v30 
             
	;;#ASMEND
	;; [unrolled: 5-line block ×16, first 2 shown]
	s_waitcnt lgkmcnt(1)
	;;#ASMSTART
	
             v_fmac_f32 v178, v2, v33 
             
	;;#ASMEND
	;;#ASMSTART
	
             v_fmac_f32 v179, v2, v34 
             
	;;#ASMEND
	;; [unrolled: 5-line block ×16, first 2 shown]
	ds_load_b128 v[2:5], v192 offset:2560
	s_waitcnt lgkmcnt(1)
	;;#ASMSTART
	
             v_fmac_f32 v134, v48, v29 
             
	;;#ASMEND
	;;#ASMSTART
	
             v_fmac_f32 v145, v48, v30 
             
	;;#ASMEND
	;; [unrolled: 5-line block ×16, first 2 shown]
	ds_load_b128 v[29:32], v193 offset:18944
	;;#ASMSTART
	
             v_fmac_f32 v132, v48, v33 
             
	;;#ASMEND
	;;#ASMSTART
	
             v_fmac_f32 v133, v48, v34 
             
	;;#ASMEND
	;;#ASMSTART
	
             v_fmac_f32 v39, v48, v35 
             
	;;#ASMEND
	;;#ASMSTART
	
             v_fmac_f32 v131, v48, v36 
             
	;;#ASMEND
	;;#ASMSTART
	
             v_fmac_f32 v86, v49, v33 
             
	;;#ASMEND
	;;#ASMSTART
	
             v_fmac_f32 v87, v49, v34 
             
	;;#ASMEND
	;;#ASMSTART
	
             v_fmac_f32 v84, v49, v35 
             
	;;#ASMEND
	;;#ASMSTART
	
             v_fmac_f32 v85, v49, v36 
             
	;;#ASMEND
	;;#ASMSTART
	
             v_fmac_f32 v102, v50, v33 
             
	;;#ASMEND
	;;#ASMSTART
	
             v_fmac_f32 v103, v50, v34 
             
	;;#ASMEND
	;;#ASMSTART
	
             v_fmac_f32 v100, v50, v35 
             
	;;#ASMEND
	;;#ASMSTART
	
             v_fmac_f32 v101, v50, v36 
             
	;;#ASMEND
	;;#ASMSTART
	
             v_fmac_f32 v119, v51, v33 
             
	;;#ASMEND
	;;#ASMSTART
	
             v_fmac_f32 v117, v51, v34 
             
	;;#ASMEND
	;;#ASMSTART
	
             v_fmac_f32 v118, v51, v35 
             
	;;#ASMEND
	;;#ASMSTART
	
             v_fmac_f32 v128, v51, v36 
             
	;;#ASMEND
	ds_load_b128 v[33:36], v193 offset:19200
	ds_load_b128 v[48:51], v192 offset:2816
	s_waitcnt lgkmcnt(2)
	;;#ASMSTART
	
             v_fmac_f32 v182, v2, v29 
             
	;;#ASMEND
	;;#ASMSTART
	
             v_fmac_f32 v183, v2, v30 
             
	;;#ASMEND
	;; [unrolled: 5-line block ×16, first 2 shown]
	s_waitcnt lgkmcnt(1)
	;;#ASMSTART
	
             v_fmac_f32 v178, v2, v33 
             
	;;#ASMEND
	;;#ASMSTART
	
             v_fmac_f32 v179, v2, v34 
             
	;;#ASMEND
	;; [unrolled: 5-line block ×16, first 2 shown]
	ds_load_b128 v[2:5], v192 offset:3072
	s_waitcnt lgkmcnt(1)
	;;#ASMSTART
	
             v_fmac_f32 v134, v48, v29 
             
	;;#ASMEND
	;;#ASMSTART
	
             v_fmac_f32 v145, v48, v30 
             
	;;#ASMEND
	;; [unrolled: 5-line block ×16, first 2 shown]
	ds_load_b128 v[29:32], v193 offset:19456
	;;#ASMSTART
	
             v_fmac_f32 v132, v48, v33 
             
	;;#ASMEND
	;;#ASMSTART
	
             v_fmac_f32 v133, v48, v34 
             
	;;#ASMEND
	;; [unrolled: 5-line block ×16, first 2 shown]
	ds_load_b128 v[33:36], v193 offset:19712
	ds_load_b128 v[48:51], v192 offset:3328
	s_waitcnt lgkmcnt(2)
	;;#ASMSTART
	
             v_fmac_f32 v182, v2, v29 
             
	;;#ASMEND
	;;#ASMSTART
	
             v_fmac_f32 v183, v2, v30 
             
	;;#ASMEND
	;; [unrolled: 5-line block ×16, first 2 shown]
	s_waitcnt lgkmcnt(1)
	;;#ASMSTART
	
             v_fmac_f32 v178, v2, v33 
             
	;;#ASMEND
	;;#ASMSTART
	
             v_fmac_f32 v179, v2, v34 
             
	;;#ASMEND
	;; [unrolled: 5-line block ×16, first 2 shown]
	ds_load_b128 v[2:5], v192 offset:3584
	s_waitcnt lgkmcnt(1)
	;;#ASMSTART
	
             v_fmac_f32 v134, v48, v29 
             
	;;#ASMEND
	;;#ASMSTART
	
             v_fmac_f32 v145, v48, v30 
             
	;;#ASMEND
	;; [unrolled: 5-line block ×16, first 2 shown]
	ds_load_b128 v[29:32], v193 offset:19968
	;;#ASMSTART
	
             v_fmac_f32 v132, v48, v33 
             
	;;#ASMEND
	;;#ASMSTART
	
             v_fmac_f32 v133, v48, v34 
             
	;;#ASMEND
	;; [unrolled: 5-line block ×16, first 2 shown]
	ds_load_b128 v[33:36], v193 offset:20224
	ds_load_b128 v[48:51], v192 offset:3840
	s_waitcnt lgkmcnt(2)
	;;#ASMSTART
	
             v_fmac_f32 v182, v2, v29 
             
	;;#ASMEND
	;;#ASMSTART
	
             v_fmac_f32 v183, v2, v30 
             
	;;#ASMEND
	;; [unrolled: 5-line block ×16, first 2 shown]
	s_waitcnt lgkmcnt(1)
	;;#ASMSTART
	
             v_fmac_f32 v178, v2, v33 
             
	;;#ASMEND
	;;#ASMSTART
	
             v_fmac_f32 v179, v2, v34 
             
	;;#ASMEND
	;; [unrolled: 5-line block ×16, first 2 shown]
	ds_load_b128 v[2:5], v192 offset:4096
	s_waitcnt lgkmcnt(1)
	;;#ASMSTART
	
             v_fmac_f32 v134, v48, v29 
             
	;;#ASMEND
	;;#ASMSTART
	
             v_fmac_f32 v145, v48, v30 
             
	;;#ASMEND
	;; [unrolled: 5-line block ×16, first 2 shown]
	ds_load_b128 v[29:32], v193 offset:20480
	;;#ASMSTART
	
             v_fmac_f32 v132, v48, v33 
             
	;;#ASMEND
	;;#ASMSTART
	
             v_fmac_f32 v133, v48, v34 
             
	;;#ASMEND
	;; [unrolled: 5-line block ×16, first 2 shown]
	ds_load_b128 v[33:36], v193 offset:20736
	ds_load_b128 v[48:51], v192 offset:4352
	s_waitcnt lgkmcnt(2)
	;;#ASMSTART
	
             v_fmac_f32 v182, v2, v29 
             
	;;#ASMEND
	;;#ASMSTART
	
             v_fmac_f32 v183, v2, v30 
             
	;;#ASMEND
	;;#ASMSTART
	
             v_fmac_f32 v180, v2, v31 
             
	;;#ASMEND
	;;#ASMSTART
	
             v_fmac_f32 v181, v2, v32 
             
	;;#ASMEND
	;;#ASMSTART
	
             v_fmac_f32 v167, v3, v29 
             
	;;#ASMEND
	;;#ASMSTART
	
             v_fmac_f32 v166, v3, v30 
             
	;;#ASMEND
	;;#ASMSTART
	
             v_fmac_f32 v165, v3, v31 
             
	;;#ASMEND
	;;#ASMSTART
	
             v_fmac_f32 v164, v3, v32 
             
	;;#ASMEND
	;;#ASMSTART
	
             v_fmac_f32 v161, v4, v29 
             
	;;#ASMEND
	;;#ASMSTART
	
             v_fmac_f32 v160, v4, v30 
             
	;;#ASMEND
	;;#ASMSTART
	
             v_fmac_f32 v151, v4, v31 
             
	;;#ASMEND
	;;#ASMSTART
	
             v_fmac_f32 v150, v4, v32 
             
	;;#ASMEND
	;;#ASMSTART
	
             v_fmac_f32 v149, v5, v29 
             
	;;#ASMEND
	;;#ASMSTART
	
             v_fmac_f32 v148, v5, v30 
             
	;;#ASMEND
	;;#ASMSTART
	
             v_fmac_f32 v147, v5, v31 
             
	;;#ASMEND
	;;#ASMSTART
	
             v_fmac_f32 v146, v5, v32 
             
	;;#ASMEND
	s_waitcnt lgkmcnt(1)
	;;#ASMSTART
	
             v_fmac_f32 v178, v2, v33 
             
	;;#ASMEND
	;;#ASMSTART
	
             v_fmac_f32 v179, v2, v34 
             
	;;#ASMEND
	;; [unrolled: 5-line block ×16, first 2 shown]
	ds_load_b128 v[2:5], v192 offset:4608
	s_waitcnt lgkmcnt(1)
	;;#ASMSTART
	
             v_fmac_f32 v134, v48, v29 
             
	;;#ASMEND
	;;#ASMSTART
	
             v_fmac_f32 v145, v48, v30 
             
	;;#ASMEND
	;; [unrolled: 5-line block ×16, first 2 shown]
	ds_load_b128 v[29:32], v193 offset:20992
	;;#ASMSTART
	
             v_fmac_f32 v132, v48, v33 
             
	;;#ASMEND
	;;#ASMSTART
	
             v_fmac_f32 v133, v48, v34 
             
	;;#ASMEND
	;; [unrolled: 5-line block ×16, first 2 shown]
	ds_load_b128 v[33:36], v193 offset:21248
	ds_load_b128 v[48:51], v192 offset:4864
	s_waitcnt lgkmcnt(2)
	;;#ASMSTART
	
             v_fmac_f32 v182, v2, v29 
             
	;;#ASMEND
	;;#ASMSTART
	
             v_fmac_f32 v183, v2, v30 
             
	;;#ASMEND
	;;#ASMSTART
	
             v_fmac_f32 v180, v2, v31 
             
	;;#ASMEND
	;;#ASMSTART
	
             v_fmac_f32 v181, v2, v32 
             
	;;#ASMEND
	;;#ASMSTART
	
             v_fmac_f32 v167, v3, v29 
             
	;;#ASMEND
	;;#ASMSTART
	
             v_fmac_f32 v166, v3, v30 
             
	;;#ASMEND
	;;#ASMSTART
	
             v_fmac_f32 v165, v3, v31 
             
	;;#ASMEND
	;;#ASMSTART
	
             v_fmac_f32 v164, v3, v32 
             
	;;#ASMEND
	;;#ASMSTART
	
             v_fmac_f32 v161, v4, v29 
             
	;;#ASMEND
	;;#ASMSTART
	
             v_fmac_f32 v160, v4, v30 
             
	;;#ASMEND
	;;#ASMSTART
	
             v_fmac_f32 v151, v4, v31 
             
	;;#ASMEND
	;;#ASMSTART
	
             v_fmac_f32 v150, v4, v32 
             
	;;#ASMEND
	;;#ASMSTART
	
             v_fmac_f32 v149, v5, v29 
             
	;;#ASMEND
	;;#ASMSTART
	
             v_fmac_f32 v148, v5, v30 
             
	;;#ASMEND
	;;#ASMSTART
	
             v_fmac_f32 v147, v5, v31 
             
	;;#ASMEND
	;;#ASMSTART
	
             v_fmac_f32 v146, v5, v32 
             
	;;#ASMEND
	s_waitcnt lgkmcnt(1)
	;;#ASMSTART
	
             v_fmac_f32 v178, v2, v33 
             
	;;#ASMEND
	;;#ASMSTART
	
             v_fmac_f32 v179, v2, v34 
             
	;;#ASMEND
	;; [unrolled: 5-line block ×16, first 2 shown]
	ds_load_b128 v[2:5], v192 offset:5120
	s_waitcnt lgkmcnt(1)
	;;#ASMSTART
	
             v_fmac_f32 v134, v48, v29 
             
	;;#ASMEND
	;;#ASMSTART
	
             v_fmac_f32 v145, v48, v30 
             
	;;#ASMEND
	;; [unrolled: 5-line block ×16, first 2 shown]
	ds_load_b128 v[29:32], v193 offset:21504
	;;#ASMSTART
	
             v_fmac_f32 v132, v48, v33 
             
	;;#ASMEND
	;;#ASMSTART
	
             v_fmac_f32 v133, v48, v34 
             
	;;#ASMEND
	;; [unrolled: 5-line block ×16, first 2 shown]
	ds_load_b128 v[33:36], v193 offset:21760
	ds_load_b128 v[48:51], v192 offset:5376
	s_waitcnt lgkmcnt(2)
	;;#ASMSTART
	
             v_fmac_f32 v182, v2, v29 
             
	;;#ASMEND
	;;#ASMSTART
	
             v_fmac_f32 v183, v2, v30 
             
	;;#ASMEND
	;; [unrolled: 5-line block ×16, first 2 shown]
	s_waitcnt lgkmcnt(1)
	;;#ASMSTART
	
             v_fmac_f32 v178, v2, v33 
             
	;;#ASMEND
	;;#ASMSTART
	
             v_fmac_f32 v179, v2, v34 
             
	;;#ASMEND
	;; [unrolled: 5-line block ×16, first 2 shown]
	ds_load_b128 v[2:5], v192 offset:5632
	s_waitcnt lgkmcnt(1)
	;;#ASMSTART
	
             v_fmac_f32 v134, v48, v29 
             
	;;#ASMEND
	;;#ASMSTART
	
             v_fmac_f32 v145, v48, v30 
             
	;;#ASMEND
	;; [unrolled: 5-line block ×16, first 2 shown]
	ds_load_b128 v[29:32], v193 offset:22016
	;;#ASMSTART
	
             v_fmac_f32 v132, v48, v33 
             
	;;#ASMEND
	;;#ASMSTART
	
             v_fmac_f32 v133, v48, v34 
             
	;;#ASMEND
	;; [unrolled: 5-line block ×16, first 2 shown]
	ds_load_b128 v[33:36], v193 offset:22272
	ds_load_b128 v[48:51], v192 offset:5888
	s_waitcnt lgkmcnt(2)
	;;#ASMSTART
	
             v_fmac_f32 v182, v2, v29 
             
	;;#ASMEND
	;;#ASMSTART
	
             v_fmac_f32 v183, v2, v30 
             
	;;#ASMEND
	;; [unrolled: 5-line block ×16, first 2 shown]
	s_waitcnt lgkmcnt(1)
	;;#ASMSTART
	
             v_fmac_f32 v178, v2, v33 
             
	;;#ASMEND
	;;#ASMSTART
	
             v_fmac_f32 v179, v2, v34 
             
	;;#ASMEND
	;; [unrolled: 5-line block ×16, first 2 shown]
	ds_load_b128 v[2:5], v192 offset:6144
	s_waitcnt lgkmcnt(1)
	;;#ASMSTART
	
             v_fmac_f32 v134, v48, v29 
             
	;;#ASMEND
	;;#ASMSTART
	
             v_fmac_f32 v145, v48, v30 
             
	;;#ASMEND
	;; [unrolled: 5-line block ×16, first 2 shown]
	ds_load_b128 v[29:32], v193 offset:22528
	;;#ASMSTART
	
             v_fmac_f32 v132, v48, v33 
             
	;;#ASMEND
	;;#ASMSTART
	
             v_fmac_f32 v133, v48, v34 
             
	;;#ASMEND
	;; [unrolled: 5-line block ×16, first 2 shown]
	ds_load_b128 v[33:36], v193 offset:22784
	ds_load_b128 v[48:51], v192 offset:6400
	s_waitcnt lgkmcnt(2)
	;;#ASMSTART
	
             v_fmac_f32 v182, v2, v29 
             
	;;#ASMEND
	;;#ASMSTART
	
             v_fmac_f32 v183, v2, v30 
             
	;;#ASMEND
	;; [unrolled: 5-line block ×16, first 2 shown]
	s_waitcnt lgkmcnt(1)
	;;#ASMSTART
	
             v_fmac_f32 v178, v2, v33 
             
	;;#ASMEND
	;;#ASMSTART
	
             v_fmac_f32 v179, v2, v34 
             
	;;#ASMEND
	;; [unrolled: 5-line block ×16, first 2 shown]
	ds_load_b128 v[2:5], v192 offset:6656
	s_waitcnt lgkmcnt(1)
	;;#ASMSTART
	
             v_fmac_f32 v134, v48, v29 
             
	;;#ASMEND
	;;#ASMSTART
	
             v_fmac_f32 v145, v48, v30 
             
	;;#ASMEND
	;; [unrolled: 5-line block ×16, first 2 shown]
	ds_load_b128 v[29:32], v193 offset:23040
	;;#ASMSTART
	
             v_fmac_f32 v132, v48, v33 
             
	;;#ASMEND
	;;#ASMSTART
	
             v_fmac_f32 v133, v48, v34 
             
	;;#ASMEND
	;; [unrolled: 5-line block ×16, first 2 shown]
	ds_load_b128 v[33:36], v193 offset:23296
	ds_load_b128 v[48:51], v192 offset:6912
	s_waitcnt lgkmcnt(2)
	;;#ASMSTART
	
             v_fmac_f32 v182, v2, v29 
             
	;;#ASMEND
	;;#ASMSTART
	
             v_fmac_f32 v183, v2, v30 
             
	;;#ASMEND
	;; [unrolled: 5-line block ×16, first 2 shown]
	s_waitcnt lgkmcnt(1)
	;;#ASMSTART
	
             v_fmac_f32 v178, v2, v33 
             
	;;#ASMEND
	;;#ASMSTART
	
             v_fmac_f32 v179, v2, v34 
             
	;;#ASMEND
	;; [unrolled: 5-line block ×16, first 2 shown]
	ds_load_b128 v[2:5], v192 offset:7168
	s_waitcnt lgkmcnt(1)
	;;#ASMSTART
	
             v_fmac_f32 v134, v48, v29 
             
	;;#ASMEND
	;;#ASMSTART
	
             v_fmac_f32 v145, v48, v30 
             
	;;#ASMEND
	;; [unrolled: 5-line block ×16, first 2 shown]
	ds_load_b128 v[29:32], v193 offset:23552
	;;#ASMSTART
	
             v_fmac_f32 v132, v48, v33 
             
	;;#ASMEND
	;;#ASMSTART
	
             v_fmac_f32 v133, v48, v34 
             
	;;#ASMEND
	;;#ASMSTART
	
             v_fmac_f32 v39, v48, v35 
             
	;;#ASMEND
	;;#ASMSTART
	
             v_fmac_f32 v131, v48, v36 
             
	;;#ASMEND
	;;#ASMSTART
	
             v_fmac_f32 v86, v49, v33 
             
	;;#ASMEND
	;;#ASMSTART
	
             v_fmac_f32 v87, v49, v34 
             
	;;#ASMEND
	;;#ASMSTART
	
             v_fmac_f32 v84, v49, v35 
             
	;;#ASMEND
	;;#ASMSTART
	
             v_fmac_f32 v85, v49, v36 
             
	;;#ASMEND
	;;#ASMSTART
	
             v_fmac_f32 v102, v50, v33 
             
	;;#ASMEND
	;;#ASMSTART
	
             v_fmac_f32 v103, v50, v34 
             
	;;#ASMEND
	;;#ASMSTART
	
             v_fmac_f32 v100, v50, v35 
             
	;;#ASMEND
	;;#ASMSTART
	
             v_fmac_f32 v101, v50, v36 
             
	;;#ASMEND
	;;#ASMSTART
	
             v_fmac_f32 v119, v51, v33 
             
	;;#ASMEND
	;;#ASMSTART
	
             v_fmac_f32 v117, v51, v34 
             
	;;#ASMEND
	;;#ASMSTART
	
             v_fmac_f32 v118, v51, v35 
             
	;;#ASMEND
	;;#ASMSTART
	
             v_fmac_f32 v128, v51, v36 
             
	;;#ASMEND
	ds_load_b128 v[33:36], v193 offset:23808
	ds_load_b128 v[48:51], v192 offset:7424
	s_waitcnt lgkmcnt(2)
	;;#ASMSTART
	
             v_fmac_f32 v182, v2, v29 
             
	;;#ASMEND
	;;#ASMSTART
	
             v_fmac_f32 v183, v2, v30 
             
	;;#ASMEND
	;; [unrolled: 5-line block ×16, first 2 shown]
	s_waitcnt lgkmcnt(1)
	;;#ASMSTART
	
             v_fmac_f32 v178, v2, v33 
             
	;;#ASMEND
	;;#ASMSTART
	
             v_fmac_f32 v179, v2, v34 
             
	;;#ASMEND
	;; [unrolled: 5-line block ×16, first 2 shown]
	ds_load_b128 v[2:5], v192 offset:7680
	s_waitcnt lgkmcnt(1)
	;;#ASMSTART
	
             v_fmac_f32 v134, v48, v29 
             
	;;#ASMEND
	;;#ASMSTART
	
             v_fmac_f32 v145, v48, v30 
             
	;;#ASMEND
	;; [unrolled: 5-line block ×16, first 2 shown]
	ds_load_b128 v[29:32], v193 offset:24064
	;;#ASMSTART
	
             v_fmac_f32 v132, v48, v33 
             
	;;#ASMEND
	;;#ASMSTART
	
             v_fmac_f32 v133, v48, v34 
             
	;;#ASMEND
	;; [unrolled: 5-line block ×16, first 2 shown]
	ds_load_b128 v[33:36], v193 offset:24320
	v_cndmask_b32_e32 v48, 0, v8, vcc_lo
	ds_load_b128 v[8:11], v192 offset:7936
	s_waitcnt lgkmcnt(2)
	;;#ASMSTART
	
             v_fmac_f32 v182, v2, v29 
             
	;;#ASMEND
	;;#ASMSTART
	
             v_fmac_f32 v183, v2, v30 
             
	;;#ASMEND
	;; [unrolled: 5-line block ×16, first 2 shown]
	s_waitcnt lgkmcnt(1)
	;;#ASMSTART
	
             v_fmac_f32 v178, v2, v33 
             
	;;#ASMEND
	;;#ASMSTART
	
             v_fmac_f32 v179, v2, v34 
             
	;;#ASMEND
	;; [unrolled: 5-line block ×16, first 2 shown]
	s_waitcnt lgkmcnt(0)
	;;#ASMSTART
	
             v_fmac_f32 v134, v8, v29 
             
	;;#ASMEND
	;;#ASMSTART
	
             v_fmac_f32 v145, v8, v30 
             
	;;#ASMEND
	;;#ASMSTART
	
             v_fmac_f32 v144, v8, v31 
             
	;;#ASMEND
	;;#ASMSTART
	
             v_fmac_f32 v135, v8, v32 
             
	;;#ASMEND
	;;#ASMSTART
	
             v_fmac_f32 v130, v9, v29 
             
	;;#ASMEND
	;;#ASMSTART
	
             v_fmac_f32 v129, v9, v30 
             
	;;#ASMEND
	;;#ASMSTART
	
             v_fmac_f32 v55, v9, v31 
             
	;;#ASMEND
	;;#ASMSTART
	
             v_fmac_f32 v54, v9, v32 
             
	;;#ASMEND
	;;#ASMSTART
	
             v_fmac_f32 v99, v10, v29 
             
	;;#ASMEND
	;;#ASMSTART
	
             v_fmac_f32 v98, v10, v30 
             
	;;#ASMEND
	;;#ASMSTART
	
             v_fmac_f32 v97, v10, v31 
             
	;;#ASMEND
	;;#ASMSTART
	
             v_fmac_f32 v96, v10, v32 
             
	;;#ASMEND
	;;#ASMSTART
	
             v_fmac_f32 v115, v11, v29 
             
	;;#ASMEND
	;;#ASMSTART
	
             v_fmac_f32 v114, v11, v30 
             
	;;#ASMEND
	;;#ASMSTART
	
             v_fmac_f32 v112, v11, v31 
             
	;;#ASMEND
	;;#ASMSTART
	
             v_fmac_f32 v113, v11, v32 
             
	;;#ASMEND
	;;#ASMSTART
	
             v_fmac_f32 v132, v8, v33 
             
	;;#ASMEND
	;;#ASMSTART
	
             v_fmac_f32 v133, v8, v34 
             
	;;#ASMEND
	;;#ASMSTART
	
             v_fmac_f32 v39, v8, v35 
             
	;;#ASMEND
	;;#ASMSTART
	
             v_fmac_f32 v131, v8, v36 
             
	;;#ASMEND
	;;#ASMSTART
	
             v_fmac_f32 v86, v9, v33 
             
	;;#ASMEND
	;;#ASMSTART
	
             v_fmac_f32 v87, v9, v34 
             
	;;#ASMEND
	;;#ASMSTART
	
             v_fmac_f32 v84, v9, v35 
             
	;;#ASMEND
	;;#ASMSTART
	
             v_fmac_f32 v85, v9, v36 
             
	;;#ASMEND
	;;#ASMSTART
	
             v_fmac_f32 v102, v10, v33 
             
	;;#ASMEND
	;;#ASMSTART
	
             v_fmac_f32 v103, v10, v34 
             
	;;#ASMEND
	;;#ASMSTART
	
             v_fmac_f32 v100, v10, v35 
             
	;;#ASMEND
	;;#ASMSTART
	
             v_fmac_f32 v101, v10, v36 
             
	;;#ASMEND
	;;#ASMSTART
	
             v_fmac_f32 v119, v11, v33 
             
	;;#ASMEND
	;;#ASMSTART
	
             v_fmac_f32 v117, v11, v34 
             
	;;#ASMEND
	;;#ASMSTART
	
             v_fmac_f32 v118, v11, v35 
             
	;;#ASMEND
	;;#ASMSTART
	
             v_fmac_f32 v128, v11, v36 
             
	;;#ASMEND
	ds_store_2addr_stride64_b32 v195, v1, v26 offset0:2 offset1:4
	ds_store_2addr_stride64_b32 v195, v0, v25 offset0:6 offset1:8
	;; [unrolled: 1-line block ×7, first 2 shown]
	ds_store_b32 v195, v22 offset:3584
	ds_store_b32 v196, v27 offset:3584
	s_waitcnt lgkmcnt(0)
	s_barrier
	ds_load_b128 v[0:3], v192 offset:8192
	ds_load_b128 v[8:11], v193 offset:24576
	;; [unrolled: 1-line block ×4, first 2 shown]
	s_waitcnt lgkmcnt(2)
	;;#ASMSTART
	
             v_fmac_f32 v182, v0, v8 
             
	;;#ASMEND
	;;#ASMSTART
	
             v_fmac_f32 v183, v0, v9 
             
	;;#ASMEND
	;; [unrolled: 5-line block ×16, first 2 shown]
	s_waitcnt lgkmcnt(1)
	;;#ASMSTART
	
             v_fmac_f32 v178, v0, v16 
             
	;;#ASMEND
	;;#ASMSTART
	
             v_fmac_f32 v179, v0, v17 
             
	;;#ASMEND
	;; [unrolled: 5-line block ×16, first 2 shown]
	ds_load_b128 v[0:3], v192 offset:8704
	s_waitcnt lgkmcnt(1)
	;;#ASMSTART
	
             v_fmac_f32 v134, v22, v8 
             
	;;#ASMEND
	;;#ASMSTART
	
             v_fmac_f32 v145, v22, v9 
             
	;;#ASMEND
	;; [unrolled: 5-line block ×16, first 2 shown]
	ds_load_b128 v[8:11], v193 offset:25088
	;;#ASMSTART
	
             v_fmac_f32 v132, v22, v16 
             
	;;#ASMEND
	;;#ASMSTART
	
             v_fmac_f32 v133, v22, v17 
             
	;;#ASMEND
	;; [unrolled: 5-line block ×16, first 2 shown]
	ds_load_b128 v[16:19], v193 offset:25344
	ds_load_b128 v[22:25], v192 offset:8960
	s_waitcnt lgkmcnt(2)
	;;#ASMSTART
	
             v_fmac_f32 v182, v0, v8 
             
	;;#ASMEND
	;;#ASMSTART
	
             v_fmac_f32 v183, v0, v9 
             
	;;#ASMEND
	;; [unrolled: 5-line block ×16, first 2 shown]
	s_waitcnt lgkmcnt(1)
	;;#ASMSTART
	
             v_fmac_f32 v178, v0, v16 
             
	;;#ASMEND
	;;#ASMSTART
	
             v_fmac_f32 v179, v0, v17 
             
	;;#ASMEND
	;; [unrolled: 5-line block ×16, first 2 shown]
	ds_load_b128 v[0:3], v192 offset:9216
	s_waitcnt lgkmcnt(1)
	;;#ASMSTART
	
             v_fmac_f32 v134, v22, v8 
             
	;;#ASMEND
	;;#ASMSTART
	
             v_fmac_f32 v145, v22, v9 
             
	;;#ASMEND
	;; [unrolled: 5-line block ×16, first 2 shown]
	ds_load_b128 v[8:11], v193 offset:25600
	;;#ASMSTART
	
             v_fmac_f32 v132, v22, v16 
             
	;;#ASMEND
	;;#ASMSTART
	
             v_fmac_f32 v133, v22, v17 
             
	;;#ASMEND
	;; [unrolled: 5-line block ×16, first 2 shown]
	ds_load_b128 v[16:19], v193 offset:25856
	ds_load_b128 v[22:25], v192 offset:9472
	s_waitcnt lgkmcnt(2)
	;;#ASMSTART
	
             v_fmac_f32 v182, v0, v8 
             
	;;#ASMEND
	;;#ASMSTART
	
             v_fmac_f32 v183, v0, v9 
             
	;;#ASMEND
	;; [unrolled: 5-line block ×16, first 2 shown]
	s_waitcnt lgkmcnt(1)
	;;#ASMSTART
	
             v_fmac_f32 v178, v0, v16 
             
	;;#ASMEND
	;;#ASMSTART
	
             v_fmac_f32 v179, v0, v17 
             
	;;#ASMEND
	;;#ASMSTART
	
             v_fmac_f32 v176, v0, v18 
             
	;;#ASMEND
	;;#ASMSTART
	
             v_fmac_f32 v177, v0, v19 
             
	;;#ASMEND
	;;#ASMSTART
	
             v_fmac_f32 v162, v1, v16 
             
	;;#ASMEND
	;;#ASMSTART
	
             v_fmac_f32 v163, v1, v17 
             
	;;#ASMEND
	;;#ASMSTART
	
             v_fmac_f32 v68, v1, v18 
             
	;;#ASMEND
	;;#ASMSTART
	
             v_fmac_f32 v71, v1, v19 
             
	;;#ASMEND
	;;#ASMSTART
	
             v_fmac_f32 v66, v2, v16 
             
	;;#ASMEND
	;;#ASMSTART
	
             v_fmac_f32 v67, v2, v17 
             
	;;#ASMEND
	;;#ASMSTART
	
             v_fmac_f32 v64, v2, v18 
             
	;;#ASMEND
	;;#ASMSTART
	
             v_fmac_f32 v65, v2, v19 
             
	;;#ASMEND
	;;#ASMSTART
	
             v_fmac_f32 v83, v3, v16 
             
	;;#ASMEND
	;;#ASMSTART
	
             v_fmac_f32 v82, v3, v17 
             
	;;#ASMEND
	;;#ASMSTART
	
             v_fmac_f32 v80, v3, v18 
             
	;;#ASMEND
	;;#ASMSTART
	
             v_fmac_f32 v81, v3, v19 
             
	;;#ASMEND
	ds_load_b128 v[0:3], v192 offset:9728
	s_waitcnt lgkmcnt(1)
	;;#ASMSTART
	
             v_fmac_f32 v134, v22, v8 
             
	;;#ASMEND
	;;#ASMSTART
	
             v_fmac_f32 v145, v22, v9 
             
	;;#ASMEND
	;; [unrolled: 5-line block ×16, first 2 shown]
	ds_load_b128 v[8:11], v193 offset:26112
	;;#ASMSTART
	
             v_fmac_f32 v132, v22, v16 
             
	;;#ASMEND
	;;#ASMSTART
	
             v_fmac_f32 v133, v22, v17 
             
	;;#ASMEND
	;; [unrolled: 5-line block ×16, first 2 shown]
	ds_load_b128 v[16:19], v193 offset:26368
	ds_load_b128 v[22:25], v192 offset:9984
	s_waitcnt lgkmcnt(2)
	;;#ASMSTART
	
             v_fmac_f32 v182, v0, v8 
             
	;;#ASMEND
	;;#ASMSTART
	
             v_fmac_f32 v183, v0, v9 
             
	;;#ASMEND
	;; [unrolled: 5-line block ×16, first 2 shown]
	s_waitcnt lgkmcnt(1)
	;;#ASMSTART
	
             v_fmac_f32 v178, v0, v16 
             
	;;#ASMEND
	;;#ASMSTART
	
             v_fmac_f32 v179, v0, v17 
             
	;;#ASMEND
	;; [unrolled: 5-line block ×16, first 2 shown]
	ds_load_b128 v[0:3], v192 offset:10240
	s_waitcnt lgkmcnt(1)
	;;#ASMSTART
	
             v_fmac_f32 v134, v22, v8 
             
	;;#ASMEND
	;;#ASMSTART
	
             v_fmac_f32 v145, v22, v9 
             
	;;#ASMEND
	;; [unrolled: 5-line block ×16, first 2 shown]
	ds_load_b128 v[8:11], v193 offset:26624
	;;#ASMSTART
	
             v_fmac_f32 v132, v22, v16 
             
	;;#ASMEND
	;;#ASMSTART
	
             v_fmac_f32 v133, v22, v17 
             
	;;#ASMEND
	;;#ASMSTART
	
             v_fmac_f32 v39, v22, v18 
             
	;;#ASMEND
	;;#ASMSTART
	
             v_fmac_f32 v131, v22, v19 
             
	;;#ASMEND
	;;#ASMSTART
	
             v_fmac_f32 v86, v23, v16 
             
	;;#ASMEND
	;;#ASMSTART
	
             v_fmac_f32 v87, v23, v17 
             
	;;#ASMEND
	;;#ASMSTART
	
             v_fmac_f32 v84, v23, v18 
             
	;;#ASMEND
	;;#ASMSTART
	
             v_fmac_f32 v85, v23, v19 
             
	;;#ASMEND
	;;#ASMSTART
	
             v_fmac_f32 v102, v24, v16 
             
	;;#ASMEND
	;;#ASMSTART
	
             v_fmac_f32 v103, v24, v17 
             
	;;#ASMEND
	;;#ASMSTART
	
             v_fmac_f32 v100, v24, v18 
             
	;;#ASMEND
	;;#ASMSTART
	
             v_fmac_f32 v101, v24, v19 
             
	;;#ASMEND
	;;#ASMSTART
	
             v_fmac_f32 v119, v25, v16 
             
	;;#ASMEND
	;;#ASMSTART
	
             v_fmac_f32 v117, v25, v17 
             
	;;#ASMEND
	;;#ASMSTART
	
             v_fmac_f32 v118, v25, v18 
             
	;;#ASMEND
	;;#ASMSTART
	
             v_fmac_f32 v128, v25, v19 
             
	;;#ASMEND
	ds_load_b128 v[16:19], v193 offset:26880
	ds_load_b128 v[22:25], v192 offset:10496
	s_waitcnt lgkmcnt(2)
	;;#ASMSTART
	
             v_fmac_f32 v182, v0, v8 
             
	;;#ASMEND
	;;#ASMSTART
	
             v_fmac_f32 v183, v0, v9 
             
	;;#ASMEND
	;; [unrolled: 5-line block ×16, first 2 shown]
	s_waitcnt lgkmcnt(1)
	;;#ASMSTART
	
             v_fmac_f32 v178, v0, v16 
             
	;;#ASMEND
	;;#ASMSTART
	
             v_fmac_f32 v179, v0, v17 
             
	;;#ASMEND
	;; [unrolled: 5-line block ×16, first 2 shown]
	ds_load_b128 v[0:3], v192 offset:10752
	s_waitcnt lgkmcnt(1)
	;;#ASMSTART
	
             v_fmac_f32 v134, v22, v8 
             
	;;#ASMEND
	;;#ASMSTART
	
             v_fmac_f32 v145, v22, v9 
             
	;;#ASMEND
	;; [unrolled: 5-line block ×16, first 2 shown]
	ds_load_b128 v[8:11], v193 offset:27136
	;;#ASMSTART
	
             v_fmac_f32 v132, v22, v16 
             
	;;#ASMEND
	;;#ASMSTART
	
             v_fmac_f32 v133, v22, v17 
             
	;;#ASMEND
	;;#ASMSTART
	
             v_fmac_f32 v39, v22, v18 
             
	;;#ASMEND
	;;#ASMSTART
	
             v_fmac_f32 v131, v22, v19 
             
	;;#ASMEND
	;;#ASMSTART
	
             v_fmac_f32 v86, v23, v16 
             
	;;#ASMEND
	;;#ASMSTART
	
             v_fmac_f32 v87, v23, v17 
             
	;;#ASMEND
	;;#ASMSTART
	
             v_fmac_f32 v84, v23, v18 
             
	;;#ASMEND
	;;#ASMSTART
	
             v_fmac_f32 v85, v23, v19 
             
	;;#ASMEND
	;;#ASMSTART
	
             v_fmac_f32 v102, v24, v16 
             
	;;#ASMEND
	;;#ASMSTART
	
             v_fmac_f32 v103, v24, v17 
             
	;;#ASMEND
	;;#ASMSTART
	
             v_fmac_f32 v100, v24, v18 
             
	;;#ASMEND
	;;#ASMSTART
	
             v_fmac_f32 v101, v24, v19 
             
	;;#ASMEND
	;;#ASMSTART
	
             v_fmac_f32 v119, v25, v16 
             
	;;#ASMEND
	;;#ASMSTART
	
             v_fmac_f32 v117, v25, v17 
             
	;;#ASMEND
	;;#ASMSTART
	
             v_fmac_f32 v118, v25, v18 
             
	;;#ASMEND
	;;#ASMSTART
	
             v_fmac_f32 v128, v25, v19 
             
	;;#ASMEND
	ds_load_b128 v[16:19], v193 offset:27392
	ds_load_b128 v[22:25], v192 offset:11008
	s_waitcnt lgkmcnt(2)
	;;#ASMSTART
	
             v_fmac_f32 v182, v0, v8 
             
	;;#ASMEND
	;;#ASMSTART
	
             v_fmac_f32 v183, v0, v9 
             
	;;#ASMEND
	;; [unrolled: 5-line block ×16, first 2 shown]
	s_waitcnt lgkmcnt(1)
	;;#ASMSTART
	
             v_fmac_f32 v178, v0, v16 
             
	;;#ASMEND
	;;#ASMSTART
	
             v_fmac_f32 v179, v0, v17 
             
	;;#ASMEND
	;; [unrolled: 5-line block ×16, first 2 shown]
	ds_load_b128 v[0:3], v192 offset:11264
	s_waitcnt lgkmcnt(1)
	;;#ASMSTART
	
             v_fmac_f32 v134, v22, v8 
             
	;;#ASMEND
	;;#ASMSTART
	
             v_fmac_f32 v145, v22, v9 
             
	;;#ASMEND
	;; [unrolled: 5-line block ×16, first 2 shown]
	ds_load_b128 v[8:11], v193 offset:27648
	;;#ASMSTART
	
             v_fmac_f32 v132, v22, v16 
             
	;;#ASMEND
	;;#ASMSTART
	
             v_fmac_f32 v133, v22, v17 
             
	;;#ASMEND
	;; [unrolled: 5-line block ×16, first 2 shown]
	ds_load_b128 v[16:19], v193 offset:27904
	ds_load_b128 v[22:25], v192 offset:11520
	s_waitcnt lgkmcnt(2)
	;;#ASMSTART
	
             v_fmac_f32 v182, v0, v8 
             
	;;#ASMEND
	;;#ASMSTART
	
             v_fmac_f32 v183, v0, v9 
             
	;;#ASMEND
	;; [unrolled: 5-line block ×16, first 2 shown]
	s_waitcnt lgkmcnt(1)
	;;#ASMSTART
	
             v_fmac_f32 v178, v0, v16 
             
	;;#ASMEND
	;;#ASMSTART
	
             v_fmac_f32 v179, v0, v17 
             
	;;#ASMEND
	;; [unrolled: 5-line block ×16, first 2 shown]
	ds_load_b128 v[0:3], v192 offset:11776
	s_waitcnt lgkmcnt(1)
	;;#ASMSTART
	
             v_fmac_f32 v134, v22, v8 
             
	;;#ASMEND
	;;#ASMSTART
	
             v_fmac_f32 v145, v22, v9 
             
	;;#ASMEND
	;;#ASMSTART
	
             v_fmac_f32 v144, v22, v10 
             
	;;#ASMEND
	;;#ASMSTART
	
             v_fmac_f32 v135, v22, v11 
             
	;;#ASMEND
	;;#ASMSTART
	
             v_fmac_f32 v130, v23, v8 
             
	;;#ASMEND
	;;#ASMSTART
	
             v_fmac_f32 v129, v23, v9 
             
	;;#ASMEND
	;;#ASMSTART
	
             v_fmac_f32 v55, v23, v10 
             
	;;#ASMEND
	;;#ASMSTART
	
             v_fmac_f32 v54, v23, v11 
             
	;;#ASMEND
	;;#ASMSTART
	
             v_fmac_f32 v99, v24, v8 
             
	;;#ASMEND
	;;#ASMSTART
	
             v_fmac_f32 v98, v24, v9 
             
	;;#ASMEND
	;;#ASMSTART
	
             v_fmac_f32 v97, v24, v10 
             
	;;#ASMEND
	;;#ASMSTART
	
             v_fmac_f32 v96, v24, v11 
             
	;;#ASMEND
	;;#ASMSTART
	
             v_fmac_f32 v115, v25, v8 
             
	;;#ASMEND
	;;#ASMSTART
	
             v_fmac_f32 v114, v25, v9 
             
	;;#ASMEND
	;;#ASMSTART
	
             v_fmac_f32 v112, v25, v10 
             
	;;#ASMEND
	;;#ASMSTART
	
             v_fmac_f32 v113, v25, v11 
             
	;;#ASMEND
	ds_load_b128 v[8:11], v193 offset:28160
	;;#ASMSTART
	
             v_fmac_f32 v132, v22, v16 
             
	;;#ASMEND
	;;#ASMSTART
	
             v_fmac_f32 v133, v22, v17 
             
	;;#ASMEND
	;; [unrolled: 5-line block ×16, first 2 shown]
	ds_load_b128 v[16:19], v193 offset:28416
	ds_load_b128 v[22:25], v192 offset:12032
	s_waitcnt lgkmcnt(2)
	;;#ASMSTART
	
             v_fmac_f32 v182, v0, v8 
             
	;;#ASMEND
	;;#ASMSTART
	
             v_fmac_f32 v183, v0, v9 
             
	;;#ASMEND
	;; [unrolled: 5-line block ×16, first 2 shown]
	s_waitcnt lgkmcnt(1)
	;;#ASMSTART
	
             v_fmac_f32 v178, v0, v16 
             
	;;#ASMEND
	;;#ASMSTART
	
             v_fmac_f32 v179, v0, v17 
             
	;;#ASMEND
	;; [unrolled: 5-line block ×16, first 2 shown]
	ds_load_b128 v[0:3], v192 offset:12288
	s_waitcnt lgkmcnt(1)
	;;#ASMSTART
	
             v_fmac_f32 v134, v22, v8 
             
	;;#ASMEND
	;;#ASMSTART
	
             v_fmac_f32 v145, v22, v9 
             
	;;#ASMEND
	;; [unrolled: 5-line block ×16, first 2 shown]
	ds_load_b128 v[8:11], v193 offset:28672
	;;#ASMSTART
	
             v_fmac_f32 v132, v22, v16 
             
	;;#ASMEND
	;;#ASMSTART
	
             v_fmac_f32 v133, v22, v17 
             
	;;#ASMEND
	;; [unrolled: 5-line block ×16, first 2 shown]
	ds_load_b128 v[16:19], v193 offset:28928
	ds_load_b128 v[22:25], v192 offset:12544
	s_waitcnt lgkmcnt(2)
	;;#ASMSTART
	
             v_fmac_f32 v182, v0, v8 
             
	;;#ASMEND
	;;#ASMSTART
	
             v_fmac_f32 v183, v0, v9 
             
	;;#ASMEND
	;; [unrolled: 5-line block ×16, first 2 shown]
	s_waitcnt lgkmcnt(1)
	;;#ASMSTART
	
             v_fmac_f32 v178, v0, v16 
             
	;;#ASMEND
	;;#ASMSTART
	
             v_fmac_f32 v179, v0, v17 
             
	;;#ASMEND
	;; [unrolled: 5-line block ×16, first 2 shown]
	ds_load_b128 v[0:3], v192 offset:12800
	s_waitcnt lgkmcnt(1)
	;;#ASMSTART
	
             v_fmac_f32 v134, v22, v8 
             
	;;#ASMEND
	;;#ASMSTART
	
             v_fmac_f32 v145, v22, v9 
             
	;;#ASMEND
	;; [unrolled: 5-line block ×16, first 2 shown]
	ds_load_b128 v[8:11], v193 offset:29184
	;;#ASMSTART
	
             v_fmac_f32 v132, v22, v16 
             
	;;#ASMEND
	;;#ASMSTART
	
             v_fmac_f32 v133, v22, v17 
             
	;;#ASMEND
	;; [unrolled: 5-line block ×16, first 2 shown]
	ds_load_b128 v[16:19], v193 offset:29440
	ds_load_b128 v[22:25], v192 offset:13056
	s_waitcnt lgkmcnt(2)
	;;#ASMSTART
	
             v_fmac_f32 v182, v0, v8 
             
	;;#ASMEND
	;;#ASMSTART
	
             v_fmac_f32 v183, v0, v9 
             
	;;#ASMEND
	;;#ASMSTART
	
             v_fmac_f32 v180, v0, v10 
             
	;;#ASMEND
	;;#ASMSTART
	
             v_fmac_f32 v181, v0, v11 
             
	;;#ASMEND
	;;#ASMSTART
	
             v_fmac_f32 v167, v1, v8 
             
	;;#ASMEND
	;;#ASMSTART
	
             v_fmac_f32 v166, v1, v9 
             
	;;#ASMEND
	;;#ASMSTART
	
             v_fmac_f32 v165, v1, v10 
             
	;;#ASMEND
	;;#ASMSTART
	
             v_fmac_f32 v164, v1, v11 
             
	;;#ASMEND
	;;#ASMSTART
	
             v_fmac_f32 v161, v2, v8 
             
	;;#ASMEND
	;;#ASMSTART
	
             v_fmac_f32 v160, v2, v9 
             
	;;#ASMEND
	;;#ASMSTART
	
             v_fmac_f32 v151, v2, v10 
             
	;;#ASMEND
	;;#ASMSTART
	
             v_fmac_f32 v150, v2, v11 
             
	;;#ASMEND
	;;#ASMSTART
	
             v_fmac_f32 v149, v3, v8 
             
	;;#ASMEND
	;;#ASMSTART
	
             v_fmac_f32 v148, v3, v9 
             
	;;#ASMEND
	;;#ASMSTART
	
             v_fmac_f32 v147, v3, v10 
             
	;;#ASMEND
	;;#ASMSTART
	
             v_fmac_f32 v146, v3, v11 
             
	;;#ASMEND
	s_waitcnt lgkmcnt(1)
	;;#ASMSTART
	
             v_fmac_f32 v178, v0, v16 
             
	;;#ASMEND
	;;#ASMSTART
	
             v_fmac_f32 v179, v0, v17 
             
	;;#ASMEND
	;; [unrolled: 5-line block ×16, first 2 shown]
	ds_load_b128 v[0:3], v192 offset:13312
	s_waitcnt lgkmcnt(1)
	;;#ASMSTART
	
             v_fmac_f32 v134, v22, v8 
             
	;;#ASMEND
	;;#ASMSTART
	
             v_fmac_f32 v145, v22, v9 
             
	;;#ASMEND
	;; [unrolled: 5-line block ×16, first 2 shown]
	ds_load_b128 v[8:11], v193 offset:29696
	;;#ASMSTART
	
             v_fmac_f32 v132, v22, v16 
             
	;;#ASMEND
	;;#ASMSTART
	
             v_fmac_f32 v133, v22, v17 
             
	;;#ASMEND
	;; [unrolled: 5-line block ×16, first 2 shown]
	ds_load_b128 v[16:19], v193 offset:29952
	ds_load_b128 v[22:25], v192 offset:13568
	s_waitcnt lgkmcnt(2)
	;;#ASMSTART
	
             v_fmac_f32 v182, v0, v8 
             
	;;#ASMEND
	;;#ASMSTART
	
             v_fmac_f32 v183, v0, v9 
             
	;;#ASMEND
	;; [unrolled: 5-line block ×16, first 2 shown]
	s_waitcnt lgkmcnt(1)
	;;#ASMSTART
	
             v_fmac_f32 v178, v0, v16 
             
	;;#ASMEND
	;;#ASMSTART
	
             v_fmac_f32 v179, v0, v17 
             
	;;#ASMEND
	;; [unrolled: 5-line block ×16, first 2 shown]
	ds_load_b128 v[0:3], v192 offset:13824
	s_waitcnt lgkmcnt(1)
	;;#ASMSTART
	
             v_fmac_f32 v134, v22, v8 
             
	;;#ASMEND
	;;#ASMSTART
	
             v_fmac_f32 v145, v22, v9 
             
	;;#ASMEND
	;; [unrolled: 5-line block ×16, first 2 shown]
	ds_load_b128 v[8:11], v193 offset:30208
	;;#ASMSTART
	
             v_fmac_f32 v132, v22, v16 
             
	;;#ASMEND
	;;#ASMSTART
	
             v_fmac_f32 v133, v22, v17 
             
	;;#ASMEND
	;; [unrolled: 5-line block ×16, first 2 shown]
	ds_load_b128 v[16:19], v193 offset:30464
	ds_load_b128 v[22:25], v192 offset:14080
	s_waitcnt lgkmcnt(2)
	;;#ASMSTART
	
             v_fmac_f32 v182, v0, v8 
             
	;;#ASMEND
	;;#ASMSTART
	
             v_fmac_f32 v183, v0, v9 
             
	;;#ASMEND
	;; [unrolled: 5-line block ×16, first 2 shown]
	s_waitcnt lgkmcnt(1)
	;;#ASMSTART
	
             v_fmac_f32 v178, v0, v16 
             
	;;#ASMEND
	;;#ASMSTART
	
             v_fmac_f32 v179, v0, v17 
             
	;;#ASMEND
	;;#ASMSTART
	
             v_fmac_f32 v176, v0, v18 
             
	;;#ASMEND
	;;#ASMSTART
	
             v_fmac_f32 v177, v0, v19 
             
	;;#ASMEND
	;;#ASMSTART
	
             v_fmac_f32 v162, v1, v16 
             
	;;#ASMEND
	;;#ASMSTART
	
             v_fmac_f32 v163, v1, v17 
             
	;;#ASMEND
	;;#ASMSTART
	
             v_fmac_f32 v68, v1, v18 
             
	;;#ASMEND
	;;#ASMSTART
	
             v_fmac_f32 v71, v1, v19 
             
	;;#ASMEND
	;;#ASMSTART
	
             v_fmac_f32 v66, v2, v16 
             
	;;#ASMEND
	;;#ASMSTART
	
             v_fmac_f32 v67, v2, v17 
             
	;;#ASMEND
	;;#ASMSTART
	
             v_fmac_f32 v64, v2, v18 
             
	;;#ASMEND
	;;#ASMSTART
	
             v_fmac_f32 v65, v2, v19 
             
	;;#ASMEND
	;;#ASMSTART
	
             v_fmac_f32 v83, v3, v16 
             
	;;#ASMEND
	;;#ASMSTART
	
             v_fmac_f32 v82, v3, v17 
             
	;;#ASMEND
	;;#ASMSTART
	
             v_fmac_f32 v80, v3, v18 
             
	;;#ASMEND
	;;#ASMSTART
	
             v_fmac_f32 v81, v3, v19 
             
	;;#ASMEND
	ds_load_b128 v[0:3], v192 offset:14336
	s_waitcnt lgkmcnt(1)
	;;#ASMSTART
	
             v_fmac_f32 v134, v22, v8 
             
	;;#ASMEND
	;;#ASMSTART
	
             v_fmac_f32 v145, v22, v9 
             
	;;#ASMEND
	;; [unrolled: 5-line block ×16, first 2 shown]
	ds_load_b128 v[8:11], v193 offset:30720
	;;#ASMSTART
	
             v_fmac_f32 v132, v22, v16 
             
	;;#ASMEND
	;;#ASMSTART
	
             v_fmac_f32 v133, v22, v17 
             
	;;#ASMEND
	;; [unrolled: 5-line block ×16, first 2 shown]
	ds_load_b128 v[16:19], v193 offset:30976
	ds_load_b128 v[22:25], v192 offset:14592
	s_waitcnt lgkmcnt(2)
	;;#ASMSTART
	
             v_fmac_f32 v182, v0, v8 
             
	;;#ASMEND
	;;#ASMSTART
	
             v_fmac_f32 v183, v0, v9 
             
	;;#ASMEND
	;; [unrolled: 5-line block ×16, first 2 shown]
	s_waitcnt lgkmcnt(1)
	;;#ASMSTART
	
             v_fmac_f32 v178, v0, v16 
             
	;;#ASMEND
	;;#ASMSTART
	
             v_fmac_f32 v179, v0, v17 
             
	;;#ASMEND
	;; [unrolled: 5-line block ×16, first 2 shown]
	ds_load_b128 v[0:3], v192 offset:14848
	s_waitcnt lgkmcnt(1)
	;;#ASMSTART
	
             v_fmac_f32 v134, v22, v8 
             
	;;#ASMEND
	;;#ASMSTART
	
             v_fmac_f32 v145, v22, v9 
             
	;;#ASMEND
	;; [unrolled: 5-line block ×16, first 2 shown]
	ds_load_b128 v[8:11], v193 offset:31232
	;;#ASMSTART
	
             v_fmac_f32 v132, v22, v16 
             
	;;#ASMEND
	;;#ASMSTART
	
             v_fmac_f32 v133, v22, v17 
             
	;;#ASMEND
	;; [unrolled: 5-line block ×16, first 2 shown]
	ds_load_b128 v[16:19], v193 offset:31488
	ds_load_b128 v[22:25], v192 offset:15104
	s_waitcnt lgkmcnt(2)
	;;#ASMSTART
	
             v_fmac_f32 v182, v0, v8 
             
	;;#ASMEND
	;;#ASMSTART
	
             v_fmac_f32 v183, v0, v9 
             
	;;#ASMEND
	;; [unrolled: 5-line block ×16, first 2 shown]
	s_waitcnt lgkmcnt(1)
	;;#ASMSTART
	
             v_fmac_f32 v178, v0, v16 
             
	;;#ASMEND
	;;#ASMSTART
	
             v_fmac_f32 v179, v0, v17 
             
	;;#ASMEND
	;; [unrolled: 5-line block ×16, first 2 shown]
	ds_load_b128 v[0:3], v192 offset:15360
	s_waitcnt lgkmcnt(1)
	;;#ASMSTART
	
             v_fmac_f32 v134, v22, v8 
             
	;;#ASMEND
	;;#ASMSTART
	
             v_fmac_f32 v145, v22, v9 
             
	;;#ASMEND
	;; [unrolled: 5-line block ×16, first 2 shown]
	ds_load_b128 v[8:11], v193 offset:31744
	;;#ASMSTART
	
             v_fmac_f32 v132, v22, v16 
             
	;;#ASMEND
	;;#ASMSTART
	
             v_fmac_f32 v133, v22, v17 
             
	;;#ASMEND
	;; [unrolled: 5-line block ×16, first 2 shown]
	ds_load_b128 v[16:19], v193 offset:32000
	ds_load_b128 v[22:25], v192 offset:15616
	s_waitcnt lgkmcnt(2)
	;;#ASMSTART
	
             v_fmac_f32 v182, v0, v8 
             
	;;#ASMEND
	;;#ASMSTART
	
             v_fmac_f32 v183, v0, v9 
             
	;;#ASMEND
	;; [unrolled: 5-line block ×16, first 2 shown]
	s_waitcnt lgkmcnt(1)
	;;#ASMSTART
	
             v_fmac_f32 v178, v0, v16 
             
	;;#ASMEND
	;;#ASMSTART
	
             v_fmac_f32 v179, v0, v17 
             
	;;#ASMEND
	;; [unrolled: 5-line block ×16, first 2 shown]
	ds_load_b128 v[0:3], v192 offset:15872
	s_waitcnt lgkmcnt(1)
	;;#ASMSTART
	
             v_fmac_f32 v134, v22, v8 
             
	;;#ASMEND
	;;#ASMSTART
	
             v_fmac_f32 v145, v22, v9 
             
	;;#ASMEND
	;; [unrolled: 5-line block ×16, first 2 shown]
	ds_load_b128 v[8:11], v193 offset:32256
	;;#ASMSTART
	
             v_fmac_f32 v132, v22, v16 
             
	;;#ASMEND
	;;#ASMSTART
	
             v_fmac_f32 v133, v22, v17 
             
	;;#ASMEND
	;;#ASMSTART
	
             v_fmac_f32 v39, v22, v18 
             
	;;#ASMEND
	;;#ASMSTART
	
             v_fmac_f32 v131, v22, v19 
             
	;;#ASMEND
	;;#ASMSTART
	
             v_fmac_f32 v86, v23, v16 
             
	;;#ASMEND
	;;#ASMSTART
	
             v_fmac_f32 v87, v23, v17 
             
	;;#ASMEND
	;;#ASMSTART
	
             v_fmac_f32 v84, v23, v18 
             
	;;#ASMEND
	;;#ASMSTART
	
             v_fmac_f32 v85, v23, v19 
             
	;;#ASMEND
	;;#ASMSTART
	
             v_fmac_f32 v102, v24, v16 
             
	;;#ASMEND
	;;#ASMSTART
	
             v_fmac_f32 v103, v24, v17 
             
	;;#ASMEND
	;;#ASMSTART
	
             v_fmac_f32 v100, v24, v18 
             
	;;#ASMEND
	;;#ASMSTART
	
             v_fmac_f32 v101, v24, v19 
             
	;;#ASMEND
	;;#ASMSTART
	
             v_fmac_f32 v119, v25, v16 
             
	;;#ASMEND
	;;#ASMSTART
	
             v_fmac_f32 v117, v25, v17 
             
	;;#ASMEND
	;;#ASMSTART
	
             v_fmac_f32 v118, v25, v18 
             
	;;#ASMEND
	;;#ASMSTART
	
             v_fmac_f32 v128, v25, v19 
             
	;;#ASMEND
	ds_load_b128 v[16:19], v193 offset:32512
	ds_load_b128 v[22:25], v192 offset:16128
	s_waitcnt lgkmcnt(2)
	;;#ASMSTART
	
             v_fmac_f32 v182, v0, v8 
             
	;;#ASMEND
	;;#ASMSTART
	
             v_fmac_f32 v183, v0, v9 
             
	;;#ASMEND
	;; [unrolled: 5-line block ×16, first 2 shown]
	s_waitcnt lgkmcnt(1)
	;;#ASMSTART
	
             v_fmac_f32 v178, v0, v16 
             
	;;#ASMEND
	;;#ASMSTART
	
             v_fmac_f32 v179, v0, v17 
             
	;;#ASMEND
	;; [unrolled: 5-line block ×16, first 2 shown]
	s_waitcnt lgkmcnt(0)
	;;#ASMSTART
	
             v_fmac_f32 v134, v22, v8 
             
	;;#ASMEND
	;;#ASMSTART
	
             v_fmac_f32 v145, v22, v9 
             
	;;#ASMEND
	;; [unrolled: 5-line block ×32, first 2 shown]
	s_clause 0x3
	flat_load_b64 v[4:5], v[12:13] offset:8
	flat_load_b32 v10, v[12:13] offset:32
	flat_load_b32 v195, v[12:13] offset:20
	;; [unrolled: 1-line block ×3, first 2 shown]
	v_lshl_add_u32 v194, s8, 7, v70
	v_lshl_add_u32 v192, s9, 7, v69
	v_mov_b32_e32 v23, 0x31004000
	s_mov_b32 s8, exec_lo
	s_waitcnt vmcnt(3) lgkmcnt(3)
	v_mul_lo_u32 v0, v4, v194
	s_waitcnt vmcnt(2) lgkmcnt(2)
	v_cmp_gt_i32_e32 vcc_lo, v10, v192
	s_waitcnt vmcnt(1) lgkmcnt(1)
	v_cmp_gt_i32_e64 s1, v195, v194
	s_waitcnt vmcnt(0) lgkmcnt(0)
	v_lshlrev_b32_e32 v22, 2, v1
	s_delay_alu instid0(VALU_DEP_2) | instskip(SKIP_1) | instid1(VALU_DEP_1)
	s_and_b32 s0, s1, vcc_lo
	v_mad_u64_u32 v[8:9], null, v5, v192, v[0:1]
	v_lshlrev_b32_e32 v9, 2, v8
.LBB13_35:                              ; =>This Inner Loop Header: Depth=1
	v_readfirstlane_b32 s4, v20
	v_readfirstlane_b32 s5, v21
	;; [unrolled: 1-line block ×4, first 2 shown]
	s_delay_alu instid0(VALU_DEP_3) | instskip(NEXT) | instid1(VALU_DEP_2)
	v_cmp_eq_u64_e64 s2, s[4:5], v[20:21]
	v_cmp_eq_u64_e64 s3, s[6:7], v[22:23]
	s_delay_alu instid0(VALU_DEP_1) | instskip(NEXT) | instid1(SALU_CYCLE_1)
	s_and_b32 s2, s2, s3
	s_and_saveexec_b32 s2, s2
	buffer_load_b128 v[0:3], v9, s[4:7], 0 offen
                                        ; implicit-def: $vgpr9
	s_xor_b32 exec_lo, exec_lo, s2
	s_cbranch_execnz .LBB13_35
; %bb.36:
	s_mov_b32 exec_lo, s8
	s_waitcnt vmcnt(0)
	v_cndmask_b32_e64 v0, 0, v0, s0
	v_cndmask_b32_e64 v1, 0, v1, s0
	;; [unrolled: 1-line block ×4, first 2 shown]
	v_add_nc_u32_e32 v193, 64, v192
	s_delay_alu instid0(VALU_DEP_4) | instskip(NEXT) | instid1(VALU_DEP_4)
	v_dual_add_f32 v0, v182, v0 :: v_dual_add_f32 v1, v183, v1
	v_dual_add_f32 v3, v181, v3 :: v_dual_lshlrev_b32 v182, 6, v5
	s_delay_alu instid0(VALU_DEP_4) | instskip(NEXT) | instid1(VALU_DEP_4)
	v_add_f32_e32 v2, v180, v2
	v_cmp_gt_i32_e64 s0, v10, v193
	s_delay_alu instid0(VALU_DEP_4) | instskip(NEXT) | instid1(VALU_DEP_3)
	v_dual_max_f32 v24, 0, v0 :: v_dual_max_f32 v25, 0, v1
	v_dual_max_f32 v27, 0, v3 :: v_dual_max_f32 v26, 0, v2
	v_add_lshl_u32 v5, v8, v182, 2
	s_delay_alu instid0(VALU_DEP_4)
	s_and_b32 s1, s1, s0
	s_mov_b32 s8, exec_lo
.LBB13_37:                              ; =>This Inner Loop Header: Depth=1
	v_readfirstlane_b32 s4, v20
	v_readfirstlane_b32 s5, v21
	;; [unrolled: 1-line block ×4, first 2 shown]
	s_delay_alu instid0(VALU_DEP_3) | instskip(NEXT) | instid1(VALU_DEP_2)
	v_cmp_eq_u64_e64 s2, s[4:5], v[20:21]
	v_cmp_eq_u64_e64 s3, s[6:7], v[22:23]
	s_delay_alu instid0(VALU_DEP_1) | instskip(NEXT) | instid1(SALU_CYCLE_1)
	s_and_b32 s2, s2, s3
	s_and_saveexec_b32 s2, s2
	buffer_load_b128 v[0:3], v5, s[4:7], 0 offen
                                        ; implicit-def: $vgpr5
	s_xor_b32 exec_lo, exec_lo, s2
	s_cbranch_execnz .LBB13_37
; %bb.38:
	s_mov_b32 exec_lo, s8
	s_waitcnt vmcnt(0)
	v_cndmask_b32_e64 v0, 0, v0, s1
	v_cndmask_b32_e64 v1, 0, v1, s1
	;; [unrolled: 1-line block ×4, first 2 shown]
	v_or_b32_e32 v180, 1, v194
	s_delay_alu instid0(VALU_DEP_4) | instskip(NEXT) | instid1(VALU_DEP_3)
	v_dual_add_f32 v0, v178, v0 :: v_dual_add_f32 v1, v179, v1
	v_dual_add_f32 v3, v177, v3 :: v_dual_add_f32 v2, v176, v2
	v_add_nc_u32_e32 v5, v8, v4
	s_delay_alu instid0(VALU_DEP_4) | instskip(NEXT) | instid1(VALU_DEP_4)
	v_cmp_gt_i32_e64 s1, v195, v180
	v_dual_max_f32 v28, 0, v0 :: v_dual_max_f32 v29, 0, v1
	s_delay_alu instid0(VALU_DEP_4) | instskip(NEXT) | instid1(VALU_DEP_4)
	v_dual_max_f32 v30, 0, v2 :: v_dual_max_f32 v31, 0, v3
	v_lshlrev_b32_e32 v8, 2, v5
	s_delay_alu instid0(VALU_DEP_4)
	s_and_b32 s2, s1, vcc_lo
	s_mov_b32 s5, exec_lo
.LBB13_39:                              ; =>This Inner Loop Header: Depth=1
	v_readfirstlane_b32 s8, v20
	v_readfirstlane_b32 s9, v21
	;; [unrolled: 1-line block ×4, first 2 shown]
	s_delay_alu instid0(VALU_DEP_3) | instskip(NEXT) | instid1(VALU_DEP_2)
	v_cmp_eq_u64_e64 s3, s[8:9], v[20:21]
	v_cmp_eq_u64_e64 s4, s[10:11], v[22:23]
	s_delay_alu instid0(VALU_DEP_1) | instskip(NEXT) | instid1(SALU_CYCLE_1)
	s_and_b32 s3, s3, s4
	s_and_saveexec_b32 s3, s3
	buffer_load_b128 v[0:3], v8, s[8:11], 0 offen
                                        ; implicit-def: $vgpr8
	s_xor_b32 exec_lo, exec_lo, s3
	s_cbranch_execnz .LBB13_39
; %bb.40:
	s_mov_b32 exec_lo, s5
	s_waitcnt vmcnt(0)
	v_cndmask_b32_e64 v0, 0, v0, s2
	v_cndmask_b32_e64 v1, 0, v1, s2
	;; [unrolled: 1-line block ×4, first 2 shown]
	v_add_lshl_u32 v8, v5, v182, 2
	s_delay_alu instid0(VALU_DEP_4) | instskip(NEXT) | instid1(VALU_DEP_3)
	v_dual_add_f32 v0, v167, v0 :: v_dual_add_f32 v1, v166, v1
	v_dual_add_f32 v2, v165, v2 :: v_dual_add_f32 v3, v164, v3
	s_and_b32 s1, s1, s0
	s_delay_alu instid0(VALU_DEP_2) | instskip(NEXT) | instid1(VALU_DEP_2)
	v_dual_max_f32 v16, 0, v0 :: v_dual_max_f32 v17, 0, v1
	v_dual_max_f32 v18, 0, v2 :: v_dual_max_f32 v19, 0, v3
	s_mov_b32 s8, exec_lo
.LBB13_41:                              ; =>This Inner Loop Header: Depth=1
	v_readfirstlane_b32 s4, v20
	v_readfirstlane_b32 s5, v21
	v_readfirstlane_b32 s6, v22
	v_readfirstlane_b32 s7, v23
	s_delay_alu instid0(VALU_DEP_3) | instskip(NEXT) | instid1(VALU_DEP_2)
	v_cmp_eq_u64_e64 s2, s[4:5], v[20:21]
	v_cmp_eq_u64_e64 s3, s[6:7], v[22:23]
	s_delay_alu instid0(VALU_DEP_1) | instskip(NEXT) | instid1(SALU_CYCLE_1)
	s_and_b32 s2, s2, s3
	s_and_saveexec_b32 s2, s2
	buffer_load_b128 v[0:3], v8, s[4:7], 0 offen
                                        ; implicit-def: $vgpr8
	s_xor_b32 exec_lo, exec_lo, s2
	s_cbranch_execnz .LBB13_41
; %bb.42:
	s_mov_b32 exec_lo, s8
	s_waitcnt vmcnt(0)
	v_cndmask_b32_e64 v0, 0, v0, s1
	v_cndmask_b32_e64 v1, 0, v1, s1
	;; [unrolled: 1-line block ×4, first 2 shown]
	v_or_b32_e32 v164, 2, v194
	s_delay_alu instid0(VALU_DEP_4) | instskip(NEXT) | instid1(VALU_DEP_3)
	v_dual_add_f32 v0, v162, v0 :: v_dual_add_f32 v1, v163, v1
	v_dual_add_f32 v2, v68, v2 :: v_dual_add_nc_u32 v5, v5, v4
	s_delay_alu instid0(VALU_DEP_2) | instskip(NEXT) | instid1(VALU_DEP_4)
	v_dual_add_f32 v3, v71, v3 :: v_dual_max_f32 v68, 0, v0
	v_cmp_gt_i32_e64 s1, v195, v164
	s_delay_alu instid0(VALU_DEP_3) | instskip(NEXT) | instid1(VALU_DEP_3)
	v_dual_max_f32 v69, 0, v1 :: v_dual_max_f32 v70, 0, v2
	v_dual_max_f32 v71, 0, v3 :: v_dual_lshlrev_b32 v8, 2, v5
	s_delay_alu instid0(VALU_DEP_3)
	s_and_b32 s2, s1, vcc_lo
	s_mov_b32 s5, exec_lo
.LBB13_43:                              ; =>This Inner Loop Header: Depth=1
	v_readfirstlane_b32 s8, v20
	v_readfirstlane_b32 s9, v21
	;; [unrolled: 1-line block ×4, first 2 shown]
	s_delay_alu instid0(VALU_DEP_3) | instskip(NEXT) | instid1(VALU_DEP_2)
	v_cmp_eq_u64_e64 s3, s[8:9], v[20:21]
	v_cmp_eq_u64_e64 s4, s[10:11], v[22:23]
	s_delay_alu instid0(VALU_DEP_1) | instskip(NEXT) | instid1(SALU_CYCLE_1)
	s_and_b32 s3, s3, s4
	s_and_saveexec_b32 s3, s3
	buffer_load_b128 v[0:3], v8, s[8:11], 0 offen
                                        ; implicit-def: $vgpr8
	s_xor_b32 exec_lo, exec_lo, s3
	s_cbranch_execnz .LBB13_43
; %bb.44:
	s_mov_b32 exec_lo, s5
	s_waitcnt vmcnt(0)
	v_cndmask_b32_e64 v0, 0, v0, s2
	v_cndmask_b32_e64 v1, 0, v1, s2
	;; [unrolled: 1-line block ×4, first 2 shown]
	v_add_lshl_u32 v8, v5, v182, 2
	s_delay_alu instid0(VALU_DEP_4) | instskip(NEXT) | instid1(VALU_DEP_3)
	v_dual_add_f32 v0, v161, v0 :: v_dual_add_f32 v1, v160, v1
	v_dual_add_f32 v2, v151, v2 :: v_dual_add_f32 v3, v150, v3
	s_and_b32 s1, s1, s0
	s_delay_alu instid0(VALU_DEP_2) | instskip(NEXT) | instid1(VALU_DEP_2)
	v_dual_max_f32 v48, 0, v0 :: v_dual_max_f32 v49, 0, v1
	v_dual_max_f32 v50, 0, v2 :: v_dual_max_f32 v51, 0, v3
	s_mov_b32 s8, exec_lo
.LBB13_45:                              ; =>This Inner Loop Header: Depth=1
	v_readfirstlane_b32 s4, v20
	v_readfirstlane_b32 s5, v21
	;; [unrolled: 1-line block ×4, first 2 shown]
	s_delay_alu instid0(VALU_DEP_3) | instskip(NEXT) | instid1(VALU_DEP_2)
	v_cmp_eq_u64_e64 s2, s[4:5], v[20:21]
	v_cmp_eq_u64_e64 s3, s[6:7], v[22:23]
	s_delay_alu instid0(VALU_DEP_1) | instskip(NEXT) | instid1(SALU_CYCLE_1)
	s_and_b32 s2, s2, s3
	s_and_saveexec_b32 s2, s2
	buffer_load_b128 v[0:3], v8, s[4:7], 0 offen
                                        ; implicit-def: $vgpr8
	s_xor_b32 exec_lo, exec_lo, s2
	s_cbranch_execnz .LBB13_45
; %bb.46:
	s_mov_b32 exec_lo, s8
	s_waitcnt vmcnt(0)
	v_cndmask_b32_e64 v0, 0, v0, s1
	v_cndmask_b32_e64 v1, 0, v1, s1
	;; [unrolled: 1-line block ×4, first 2 shown]
	v_or_b32_e32 v150, 3, v194
	s_delay_alu instid0(VALU_DEP_4) | instskip(NEXT) | instid1(VALU_DEP_3)
	v_dual_add_f32 v0, v66, v0 :: v_dual_add_f32 v1, v67, v1
	v_dual_add_f32 v2, v64, v2 :: v_dual_add_nc_u32 v5, v5, v4
	s_delay_alu instid0(VALU_DEP_2) | instskip(NEXT) | instid1(VALU_DEP_4)
	v_dual_add_f32 v3, v65, v3 :: v_dual_max_f32 v64, 0, v0
	v_cmp_gt_i32_e64 s1, v195, v150
	s_delay_alu instid0(VALU_DEP_3) | instskip(NEXT) | instid1(VALU_DEP_3)
	v_dual_max_f32 v65, 0, v1 :: v_dual_max_f32 v66, 0, v2
	v_dual_max_f32 v67, 0, v3 :: v_dual_lshlrev_b32 v8, 2, v5
	s_delay_alu instid0(VALU_DEP_3)
	s_and_b32 s2, s1, vcc_lo
	s_mov_b32 s5, exec_lo
.LBB13_47:                              ; =>This Inner Loop Header: Depth=1
	v_readfirstlane_b32 s8, v20
	v_readfirstlane_b32 s9, v21
	;; [unrolled: 1-line block ×4, first 2 shown]
	s_delay_alu instid0(VALU_DEP_3) | instskip(NEXT) | instid1(VALU_DEP_2)
	v_cmp_eq_u64_e64 s3, s[8:9], v[20:21]
	v_cmp_eq_u64_e64 s4, s[10:11], v[22:23]
	s_delay_alu instid0(VALU_DEP_1) | instskip(NEXT) | instid1(SALU_CYCLE_1)
	s_and_b32 s3, s3, s4
	s_and_saveexec_b32 s3, s3
	buffer_load_b128 v[0:3], v8, s[8:11], 0 offen
                                        ; implicit-def: $vgpr8
	s_xor_b32 exec_lo, exec_lo, s3
	s_cbranch_execnz .LBB13_47
; %bb.48:
	s_mov_b32 exec_lo, s5
	s_waitcnt vmcnt(0)
	v_cndmask_b32_e64 v0, 0, v0, s2
	v_cndmask_b32_e64 v1, 0, v1, s2
	;; [unrolled: 1-line block ×4, first 2 shown]
	v_add_lshl_u32 v8, v5, v182, 2
	s_delay_alu instid0(VALU_DEP_4) | instskip(NEXT) | instid1(VALU_DEP_3)
	v_dual_add_f32 v0, v149, v0 :: v_dual_add_f32 v1, v148, v1
	v_dual_add_f32 v2, v147, v2 :: v_dual_add_f32 v3, v146, v3
	s_and_b32 s1, s1, s0
	s_delay_alu instid0(VALU_DEP_2) | instskip(NEXT) | instid1(VALU_DEP_2)
	v_dual_max_f32 v32, 0, v0 :: v_dual_max_f32 v33, 0, v1
	v_dual_max_f32 v34, 0, v2 :: v_dual_max_f32 v35, 0, v3
	s_mov_b32 s8, exec_lo
.LBB13_49:                              ; =>This Inner Loop Header: Depth=1
	v_readfirstlane_b32 s4, v20
	v_readfirstlane_b32 s5, v21
	v_readfirstlane_b32 s6, v22
	v_readfirstlane_b32 s7, v23
	s_delay_alu instid0(VALU_DEP_3) | instskip(NEXT) | instid1(VALU_DEP_2)
	v_cmp_eq_u64_e64 s2, s[4:5], v[20:21]
	v_cmp_eq_u64_e64 s3, s[6:7], v[22:23]
	s_delay_alu instid0(VALU_DEP_1) | instskip(NEXT) | instid1(SALU_CYCLE_1)
	s_and_b32 s2, s2, s3
	s_and_saveexec_b32 s2, s2
	buffer_load_b128 v[0:3], v8, s[4:7], 0 offen
                                        ; implicit-def: $vgpr8
	s_xor_b32 exec_lo, exec_lo, s2
	s_cbranch_execnz .LBB13_49
; %bb.50:
	s_mov_b32 exec_lo, s8
	s_waitcnt vmcnt(0)
	v_cndmask_b32_e64 v0, 0, v0, s1
	v_cndmask_b32_e64 v1, 0, v1, s1
	;; [unrolled: 1-line block ×4, first 2 shown]
	v_mad_u64_u32 v[12:13], null, v4, 61, v[5:6]
	s_delay_alu instid0(VALU_DEP_3) | instskip(SKIP_1) | instid1(VALU_DEP_4)
	v_dual_add_f32 v3, v81, v3 :: v_dual_add_nc_u32 v146, 64, v194
	v_dual_add_f32 v0, v83, v0 :: v_dual_add_f32 v1, v82, v1
	v_add_f32_e32 v2, v80, v2
	s_delay_alu instid0(VALU_DEP_3) | instskip(NEXT) | instid1(VALU_DEP_3)
	v_cmp_gt_i32_e64 s1, v195, v146
	v_dual_max_f32 v83, 0, v3 :: v_dual_max_f32 v80, 0, v0
	s_delay_alu instid0(VALU_DEP_3) | instskip(SKIP_1) | instid1(VALU_DEP_4)
	v_dual_max_f32 v81, 0, v1 :: v_dual_max_f32 v82, 0, v2
	v_lshlrev_b32_e32 v5, 2, v12
	s_and_b32 s2, s1, vcc_lo
	s_mov_b32 s5, exec_lo
.LBB13_51:                              ; =>This Inner Loop Header: Depth=1
	v_readfirstlane_b32 s8, v20
	v_readfirstlane_b32 s9, v21
	;; [unrolled: 1-line block ×4, first 2 shown]
	s_delay_alu instid0(VALU_DEP_3) | instskip(NEXT) | instid1(VALU_DEP_2)
	v_cmp_eq_u64_e64 s3, s[8:9], v[20:21]
	v_cmp_eq_u64_e64 s4, s[10:11], v[22:23]
	s_delay_alu instid0(VALU_DEP_1) | instskip(NEXT) | instid1(SALU_CYCLE_1)
	s_and_b32 s3, s3, s4
	s_and_saveexec_b32 s3, s3
	buffer_load_b128 v[0:3], v5, s[8:11], 0 offen
                                        ; implicit-def: $vgpr5
	s_xor_b32 exec_lo, exec_lo, s3
	s_cbranch_execnz .LBB13_51
; %bb.52:
	s_mov_b32 exec_lo, s5
	s_waitcnt vmcnt(0)
	v_cndmask_b32_e64 v0, 0, v0, s2
	v_cndmask_b32_e64 v1, 0, v1, s2
	;; [unrolled: 1-line block ×4, first 2 shown]
	v_add_lshl_u32 v5, v12, v182, 2
	s_delay_alu instid0(VALU_DEP_4) | instskip(NEXT) | instid1(VALU_DEP_3)
	v_dual_add_f32 v0, v134, v0 :: v_dual_add_f32 v1, v145, v1
	v_dual_add_f32 v2, v144, v2 :: v_dual_add_f32 v3, v135, v3
	s_and_b32 s1, s1, s0
	s_delay_alu instid0(VALU_DEP_2) | instskip(NEXT) | instid1(VALU_DEP_2)
	v_dual_max_f32 v0, 0, v0 :: v_dual_max_f32 v1, 0, v1
	v_dual_max_f32 v2, 0, v2 :: v_dual_max_f32 v3, 0, v3
	s_mov_b32 s8, exec_lo
.LBB13_53:                              ; =>This Inner Loop Header: Depth=1
	v_readfirstlane_b32 s4, v20
	v_readfirstlane_b32 s5, v21
	;; [unrolled: 1-line block ×4, first 2 shown]
	s_delay_alu instid0(VALU_DEP_3) | instskip(NEXT) | instid1(VALU_DEP_2)
	v_cmp_eq_u64_e64 s2, s[4:5], v[20:21]
	v_cmp_eq_u64_e64 s3, s[6:7], v[22:23]
	s_delay_alu instid0(VALU_DEP_1) | instskip(NEXT) | instid1(SALU_CYCLE_1)
	s_and_b32 s2, s2, s3
	s_and_saveexec_b32 s2, s2
	buffer_load_b128 v[8:11], v5, s[4:7], 0 offen
                                        ; implicit-def: $vgpr5
	s_xor_b32 exec_lo, exec_lo, s2
	s_cbranch_execnz .LBB13_53
; %bb.54:
	s_mov_b32 exec_lo, s8
	s_waitcnt vmcnt(0)
	v_cndmask_b32_e64 v5, 0, v8, s1
	v_cndmask_b32_e64 v8, 0, v9, s1
	;; [unrolled: 1-line block ×4, first 2 shown]
	s_delay_alu instid0(VALU_DEP_4) | instskip(NEXT) | instid1(VALU_DEP_3)
	v_dual_add_f32 v11, v132, v5 :: v_dual_add_nc_u32 v134, 0x41, v194
	v_dual_add_f32 v8, v133, v8 :: v_dual_add_f32 v9, v131, v9
	s_delay_alu instid0(VALU_DEP_3) | instskip(NEXT) | instid1(VALU_DEP_3)
	v_dual_add_f32 v12, v39, v10 :: v_dual_add_nc_u32 v5, v12, v4
	v_cmp_gt_i32_e64 s1, v195, v134
	s_delay_alu instid0(VALU_DEP_3) | instskip(NEXT) | instid1(VALU_DEP_3)
	v_dual_max_f32 v10, 0, v11 :: v_dual_max_f32 v11, 0, v8
	v_dual_max_f32 v13, 0, v9 :: v_dual_max_f32 v12, 0, v12
	s_delay_alu instid0(VALU_DEP_4) | instskip(NEXT) | instid1(VALU_DEP_4)
	v_lshlrev_b32_e32 v8, 2, v5
	s_and_b32 s2, s1, vcc_lo
	s_mov_b32 s5, exec_lo
.LBB13_55:                              ; =>This Inner Loop Header: Depth=1
	v_readfirstlane_b32 s8, v20
	v_readfirstlane_b32 s9, v21
	;; [unrolled: 1-line block ×4, first 2 shown]
	s_delay_alu instid0(VALU_DEP_3) | instskip(NEXT) | instid1(VALU_DEP_2)
	v_cmp_eq_u64_e64 s3, s[8:9], v[20:21]
	v_cmp_eq_u64_e64 s4, s[10:11], v[22:23]
	s_delay_alu instid0(VALU_DEP_1) | instskip(NEXT) | instid1(SALU_CYCLE_1)
	s_and_b32 s3, s3, s4
	s_and_saveexec_b32 s3, s3
	buffer_load_b128 v[36:39], v8, s[8:11], 0 offen
                                        ; implicit-def: $vgpr8
	s_xor_b32 exec_lo, exec_lo, s3
	s_cbranch_execnz .LBB13_55
; %bb.56:
	s_mov_b32 exec_lo, s5
	s_waitcnt vmcnt(0)
	v_cndmask_b32_e64 v8, 0, v36, s2
	v_cndmask_b32_e64 v9, 0, v37, s2
	;; [unrolled: 1-line block ×4, first 2 shown]
	s_and_b32 s1, s1, s0
	s_delay_alu instid0(VALU_DEP_3) | instskip(NEXT) | instid1(VALU_DEP_2)
	v_dual_add_f32 v8, v130, v8 :: v_dual_add_f32 v9, v129, v9
	v_dual_add_f32 v38, v55, v36 :: v_dual_add_f32 v39, v54, v37
	s_mov_b32 s8, exec_lo
	s_delay_alu instid0(VALU_DEP_2) | instskip(NEXT) | instid1(VALU_DEP_2)
	v_dual_max_f32 v36, 0, v8 :: v_dual_max_f32 v37, 0, v9
	v_dual_max_f32 v38, 0, v38 :: v_dual_max_f32 v39, 0, v39
	v_add_lshl_u32 v8, v5, v182, 2
.LBB13_57:                              ; =>This Inner Loop Header: Depth=1
	v_readfirstlane_b32 s4, v20
	v_readfirstlane_b32 s5, v21
	;; [unrolled: 1-line block ×4, first 2 shown]
	s_delay_alu instid0(VALU_DEP_3) | instskip(NEXT) | instid1(VALU_DEP_2)
	v_cmp_eq_u64_e64 s2, s[4:5], v[20:21]
	v_cmp_eq_u64_e64 s3, s[6:7], v[22:23]
	s_delay_alu instid0(VALU_DEP_1) | instskip(NEXT) | instid1(SALU_CYCLE_1)
	s_and_b32 s2, s2, s3
	s_and_saveexec_b32 s2, s2
	buffer_load_b128 v[52:55], v8, s[4:7], 0 offen
                                        ; implicit-def: $vgpr8
	s_xor_b32 exec_lo, exec_lo, s2
	s_cbranch_execnz .LBB13_57
; %bb.58:
	s_mov_b32 exec_lo, s8
	s_waitcnt vmcnt(0)
	v_cndmask_b32_e64 v8, 0, v52, s1
	v_cndmask_b32_e64 v9, 0, v53, s1
	;; [unrolled: 1-line block ×4, first 2 shown]
	s_delay_alu instid0(VALU_DEP_4) | instskip(NEXT) | instid1(VALU_DEP_4)
	v_dual_add_f32 v8, v86, v8 :: v_dual_add_nc_u32 v129, 0x42, v194
	v_add_f32_e32 v9, v87, v9
	s_delay_alu instid0(VALU_DEP_3) | instskip(SKIP_1) | instid1(VALU_DEP_4)
	v_dual_add_f32 v54, v84, v53 :: v_dual_add_nc_u32 v5, v5, v4
	v_add_f32_e32 v55, v85, v52
	v_cmp_gt_i32_e64 s1, v195, v129
	s_delay_alu instid0(VALU_DEP_4) | instskip(NEXT) | instid1(VALU_DEP_3)
	v_dual_max_f32 v52, 0, v8 :: v_dual_max_f32 v53, 0, v9
	v_dual_max_f32 v54, 0, v54 :: v_dual_max_f32 v55, 0, v55
	v_lshlrev_b32_e32 v8, 2, v5
	s_delay_alu instid0(VALU_DEP_4)
	s_and_b32 s2, s1, vcc_lo
	s_mov_b32 s5, exec_lo
.LBB13_59:                              ; =>This Inner Loop Header: Depth=1
	v_readfirstlane_b32 s8, v20
	v_readfirstlane_b32 s9, v21
	;; [unrolled: 1-line block ×4, first 2 shown]
	s_delay_alu instid0(VALU_DEP_3) | instskip(NEXT) | instid1(VALU_DEP_2)
	v_cmp_eq_u64_e64 s3, s[8:9], v[20:21]
	v_cmp_eq_u64_e64 s4, s[10:11], v[22:23]
	s_delay_alu instid0(VALU_DEP_1) | instskip(NEXT) | instid1(SALU_CYCLE_1)
	s_and_b32 s3, s3, s4
	s_and_saveexec_b32 s3, s3
	buffer_load_b128 v[84:87], v8, s[8:11], 0 offen
                                        ; implicit-def: $vgpr8
	s_xor_b32 exec_lo, exec_lo, s3
	s_cbranch_execnz .LBB13_59
; %bb.60:
	s_mov_b32 exec_lo, s5
	s_waitcnt vmcnt(0)
	v_cndmask_b32_e64 v8, 0, v84, s2
	v_cndmask_b32_e64 v9, 0, v85, s2
	;; [unrolled: 1-line block ×4, first 2 shown]
	s_and_b32 s1, s1, s0
	s_delay_alu instid0(VALU_DEP_3) | instskip(NEXT) | instid1(VALU_DEP_2)
	v_dual_add_f32 v8, v99, v8 :: v_dual_add_f32 v9, v98, v9
	v_dual_add_f32 v86, v97, v84 :: v_dual_add_f32 v87, v96, v85
	s_mov_b32 s8, exec_lo
	s_delay_alu instid0(VALU_DEP_2) | instskip(NEXT) | instid1(VALU_DEP_2)
	v_dual_max_f32 v84, 0, v8 :: v_dual_max_f32 v85, 0, v9
	v_dual_max_f32 v86, 0, v86 :: v_dual_max_f32 v87, 0, v87
	v_add_lshl_u32 v8, v5, v182, 2
.LBB13_61:                              ; =>This Inner Loop Header: Depth=1
	v_readfirstlane_b32 s4, v20
	v_readfirstlane_b32 s5, v21
	;; [unrolled: 1-line block ×4, first 2 shown]
	s_delay_alu instid0(VALU_DEP_3) | instskip(NEXT) | instid1(VALU_DEP_2)
	v_cmp_eq_u64_e64 s2, s[4:5], v[20:21]
	v_cmp_eq_u64_e64 s3, s[6:7], v[22:23]
	s_delay_alu instid0(VALU_DEP_1) | instskip(NEXT) | instid1(SALU_CYCLE_1)
	s_and_b32 s2, s2, s3
	s_and_saveexec_b32 s2, s2
	buffer_load_b128 v[96:99], v8, s[4:7], 0 offen
                                        ; implicit-def: $vgpr8
	s_xor_b32 exec_lo, exec_lo, s2
	s_cbranch_execnz .LBB13_61
; %bb.62:
	s_mov_b32 exec_lo, s8
	s_waitcnt vmcnt(0)
	v_cndmask_b32_e64 v8, 0, v96, s1
	v_cndmask_b32_e64 v9, 0, v97, s1
	;; [unrolled: 1-line block ×4, first 2 shown]
	v_add_nc_u32_e32 v130, 0x43, v194
	s_delay_alu instid0(VALU_DEP_4) | instskip(NEXT) | instid1(VALU_DEP_3)
	v_dual_add_f32 v8, v102, v8 :: v_dual_add_f32 v9, v103, v9
	v_dual_add_f32 v5, v100, v97 :: v_dual_add_nc_u32 v4, v5, v4
	v_add_f32_e32 v99, v101, v96
	s_delay_alu instid0(VALU_DEP_4) | instskip(NEXT) | instid1(VALU_DEP_4)
	v_cmp_gt_i32_e64 s1, v195, v130
	v_max_f32_e32 v97, 0, v9
	s_mov_b32 s8, exec_lo
	v_max_f32_e32 v98, 0, v5
	v_dual_max_f32 v96, 0, v8 :: v_dual_max_f32 v99, 0, v99
	v_lshlrev_b32_e32 v5, 2, v4
	s_and_b32 vcc_lo, s1, vcc_lo
.LBB13_63:                              ; =>This Inner Loop Header: Depth=1
	v_readfirstlane_b32 s4, v20
	v_readfirstlane_b32 s5, v21
	;; [unrolled: 1-line block ×4, first 2 shown]
	s_delay_alu instid0(VALU_DEP_3) | instskip(NEXT) | instid1(VALU_DEP_2)
	v_cmp_eq_u64_e64 s2, s[4:5], v[20:21]
	v_cmp_eq_u64_e64 s3, s[6:7], v[22:23]
	s_delay_alu instid0(VALU_DEP_1) | instskip(NEXT) | instid1(SALU_CYCLE_1)
	s_and_b32 s2, s2, s3
	s_and_saveexec_b32 s2, s2
	buffer_load_b128 v[100:103], v5, s[4:7], 0 offen
                                        ; implicit-def: $vgpr5
	s_xor_b32 exec_lo, exec_lo, s2
	s_cbranch_execnz .LBB13_63
; %bb.64:
	s_mov_b32 exec_lo, s8
	s_waitcnt vmcnt(0)
	v_dual_cndmask_b32 v5, 0, v100 :: v_dual_cndmask_b32 v8, 0, v101
	v_dual_cndmask_b32 v9, 0, v102 :: v_dual_cndmask_b32 v100, 0, v103
	v_add_lshl_u32 v4, v4, v182, 2
	s_delay_alu instid0(VALU_DEP_3) | instskip(NEXT) | instid1(VALU_DEP_3)
	v_dual_add_f32 v5, v115, v5 :: v_dual_add_f32 v8, v114, v8
	v_add_f32_e32 v9, v112, v9
	s_delay_alu instid0(VALU_DEP_4) | instskip(SKIP_1) | instid1(VALU_DEP_3)
	v_add_f32_e32 v103, v113, v100
	s_and_b32 vcc_lo, s1, s0
	v_dual_max_f32 v100, 0, v5 :: v_dual_max_f32 v101, 0, v8
	s_delay_alu instid0(VALU_DEP_2)
	v_dual_max_f32 v102, 0, v9 :: v_dual_max_f32 v103, 0, v103
	s_mov_b32 s2, exec_lo
.LBB13_65:                              ; =>This Inner Loop Header: Depth=1
	v_readfirstlane_b32 s4, v20
	v_readfirstlane_b32 s5, v21
	v_readfirstlane_b32 s6, v22
	v_readfirstlane_b32 s7, v23
	s_delay_alu instid0(VALU_DEP_3) | instskip(NEXT) | instid1(VALU_DEP_2)
	v_cmp_eq_u64_e64 s0, s[4:5], v[20:21]
	v_cmp_eq_u64_e64 s1, s[6:7], v[22:23]
	s_delay_alu instid0(VALU_DEP_1) | instskip(NEXT) | instid1(SALU_CYCLE_1)
	s_and_b32 s0, s0, s1
	s_and_saveexec_b32 s0, s0
	buffer_load_b128 v[112:115], v4, s[4:7], 0 offen
                                        ; implicit-def: $vgpr20_vgpr21_vgpr22_vgpr23
                                        ; implicit-def: $vgpr4
	s_xor_b32 exec_lo, exec_lo, s0
	s_cbranch_execnz .LBB13_65
; %bb.66:
	s_mov_b32 exec_lo, s2
	s_clause 0x2
	flat_load_b64 v[8:9], v[14:15] offset:8
	flat_load_b32 v4, v[14:15] offset:32
	flat_load_b32 v5, v[14:15] offset:20
	s_waitcnt vmcnt(3)
	v_dual_cndmask_b32 v20, 0, v112 :: v_dual_cndmask_b32 v21, 0, v113
	v_cndmask_b32_e32 v22, 0, v114, vcc_lo
	s_mov_b32 s1, exec_lo
	s_delay_alu instid0(VALU_DEP_2) | instskip(NEXT) | instid1(VALU_DEP_2)
	v_dual_cndmask_b32 v23, 0, v115 :: v_dual_add_f32 v20, v119, v20
	v_dual_add_f32 v21, v117, v21 :: v_dual_add_f32 v22, v118, v22
	s_delay_alu instid0(VALU_DEP_2) | instskip(NEXT) | instid1(VALU_DEP_2)
	v_dual_add_f32 v23, v128, v23 :: v_dual_max_f32 v20, 0, v20
	v_dual_max_f32 v21, 0, v21 :: v_dual_max_f32 v22, 0, v22
	s_delay_alu instid0(VALU_DEP_2)
	v_max_f32_e32 v23, 0, v23
	s_waitcnt vmcnt(2) lgkmcnt(2)
	v_mul_lo_u32 v8, v8, v194
	s_waitcnt vmcnt(1) lgkmcnt(1)
	v_cmp_gt_i32_e32 vcc_lo, v4, v192
	s_waitcnt vmcnt(0) lgkmcnt(0)
	v_cmp_gt_i32_e64 s0, v5, v194
	s_delay_alu instid0(VALU_DEP_1) | instskip(NEXT) | instid1(VALU_DEP_3)
	s_and_b32 s0, s0, vcc_lo
	v_mad_u64_u32 v[4:5], null, v9, v192, v[8:9]
	v_cndmask_b32_e64 v5, 0x80000000, 0, s0
	v_dual_mov_b32 v9, 0x31004000 :: v_dual_lshlrev_b32 v8, 2, v116
	s_delay_alu instid0(VALU_DEP_2)
	v_lshl_add_u32 v5, v4, 2, v5
.LBB13_67:                              ; =>This Inner Loop Header: Depth=1
	v_readfirstlane_b32 s4, v6
	v_readfirstlane_b32 s5, v7
	s_delay_alu instid0(VALU_DEP_4) | instskip(SKIP_1) | instid1(VALU_DEP_3)
	v_readfirstlane_b32 s6, v8
	v_readfirstlane_b32 s7, v9
	v_cmp_eq_u64_e32 vcc_lo, s[4:5], v[6:7]
	s_delay_alu instid0(VALU_DEP_2) | instskip(NEXT) | instid1(VALU_DEP_1)
	v_cmp_eq_u64_e64 s0, s[6:7], v[8:9]
	s_and_b32 s0, vcc_lo, s0
	s_delay_alu instid0(SALU_CYCLE_1)
	s_and_saveexec_b32 s0, s0
	buffer_store_b128 v[24:27], v5, s[4:7], 0 offen
                                        ; implicit-def: $vgpr24_vgpr25_vgpr26_vgpr27
                                        ; implicit-def: $vgpr5
	s_xor_b32 exec_lo, exec_lo, s0
	s_cbranch_execnz .LBB13_67
; %bb.68:
	s_mov_b32 exec_lo, s1
	s_clause 0x2
	flat_load_b32 v5, v[14:15] offset:32
	flat_load_b32 v24, v[14:15] offset:20
	;; [unrolled: 1-line block ×3, first 2 shown]
	s_mov_b32 s1, exec_lo
	s_waitcnt vmcnt(2) lgkmcnt(2)
	v_cmp_gt_i32_e32 vcc_lo, v5, v193
	s_waitcnt vmcnt(1) lgkmcnt(1)
	v_cmp_gt_i32_e64 s0, v24, v194
	s_waitcnt vmcnt(0) lgkmcnt(0)
	v_lshl_add_u32 v4, v25, 6, v4
	s_delay_alu instid0(VALU_DEP_2) | instskip(NEXT) | instid1(SALU_CYCLE_1)
	s_and_b32 s0, s0, vcc_lo
	v_cndmask_b32_e64 v5, 0x80000000, 0, s0
	s_delay_alu instid0(VALU_DEP_1)
	v_lshl_add_u32 v5, v4, 2, v5
.LBB13_69:                              ; =>This Inner Loop Header: Depth=1
	v_readfirstlane_b32 s4, v6
	v_readfirstlane_b32 s5, v7
	;; [unrolled: 1-line block ×4, first 2 shown]
	s_delay_alu instid0(VALU_DEP_3) | instskip(NEXT) | instid1(VALU_DEP_2)
	v_cmp_eq_u64_e32 vcc_lo, s[4:5], v[6:7]
	v_cmp_eq_u64_e64 s0, s[6:7], v[8:9]
	s_delay_alu instid0(VALU_DEP_1) | instskip(NEXT) | instid1(SALU_CYCLE_1)
	s_and_b32 s0, vcc_lo, s0
	s_and_saveexec_b32 s0, s0
	buffer_store_b128 v[28:31], v5, s[4:7], 0 offen
                                        ; implicit-def: $vgpr28_vgpr29_vgpr30_vgpr31
                                        ; implicit-def: $vgpr5
	s_xor_b32 exec_lo, exec_lo, s0
	s_cbranch_execnz .LBB13_69
; %bb.70:
	s_mov_b32 exec_lo, s1
	s_clause 0x2
	flat_load_b32 v5, v[14:15] offset:32
	flat_load_b32 v24, v[14:15] offset:20
	;; [unrolled: 1-line block ×3, first 2 shown]
	s_mov_b32 s1, exec_lo
	s_waitcnt vmcnt(2) lgkmcnt(2)
	v_cmp_gt_i32_e32 vcc_lo, v5, v193
	s_waitcnt vmcnt(1) lgkmcnt(1)
	v_cmp_gt_i32_e64 s0, v24, v180
	s_waitcnt vmcnt(0) lgkmcnt(0)
	v_add_nc_u32_e32 v4, v25, v4
	s_delay_alu instid0(VALU_DEP_2) | instskip(NEXT) | instid1(SALU_CYCLE_1)
	s_and_b32 s0, s0, vcc_lo
	v_cndmask_b32_e64 v5, 0x80000000, 0, s0
	s_delay_alu instid0(VALU_DEP_1)
	v_lshl_add_u32 v5, v4, 2, v5
.LBB13_71:                              ; =>This Inner Loop Header: Depth=1
	v_readfirstlane_b32 s4, v6
	v_readfirstlane_b32 s5, v7
	;; [unrolled: 1-line block ×4, first 2 shown]
	s_delay_alu instid0(VALU_DEP_3) | instskip(NEXT) | instid1(VALU_DEP_2)
	v_cmp_eq_u64_e32 vcc_lo, s[4:5], v[6:7]
	v_cmp_eq_u64_e64 s0, s[6:7], v[8:9]
	s_delay_alu instid0(VALU_DEP_1) | instskip(NEXT) | instid1(SALU_CYCLE_1)
	s_and_b32 s0, vcc_lo, s0
	s_and_saveexec_b32 s0, s0
	buffer_store_b128 v[68:71], v5, s[4:7], 0 offen
                                        ; implicit-def: $vgpr68_vgpr69_vgpr70_vgpr71
                                        ; implicit-def: $vgpr5
	s_xor_b32 exec_lo, exec_lo, s0
	s_cbranch_execnz .LBB13_71
; %bb.72:
	s_mov_b32 exec_lo, s1
	s_clause 0x2
	flat_load_b32 v5, v[14:15] offset:12
	flat_load_b32 v24, v[14:15] offset:32
	;; [unrolled: 1-line block ×3, first 2 shown]
	s_mov_b32 s1, exec_lo
	s_waitcnt vmcnt(2) lgkmcnt(2)
	v_lshlrev_b32_e32 v5, 6, v5
	s_waitcnt vmcnt(1) lgkmcnt(1)
	v_cmp_gt_i32_e32 vcc_lo, v24, v192
	s_waitcnt vmcnt(0) lgkmcnt(0)
	v_cmp_gt_i32_e64 s0, v25, v180
	v_sub_nc_u32_e32 v4, v4, v5
	s_delay_alu instid0(VALU_DEP_2) | instskip(NEXT) | instid1(SALU_CYCLE_1)
	s_and_b32 s0, s0, vcc_lo
	v_cndmask_b32_e64 v5, 0x80000000, 0, s0
	s_delay_alu instid0(VALU_DEP_1)
	v_lshl_add_u32 v5, v4, 2, v5
.LBB13_73:                              ; =>This Inner Loop Header: Depth=1
	v_readfirstlane_b32 s4, v6
	v_readfirstlane_b32 s5, v7
	;; [unrolled: 1-line block ×4, first 2 shown]
	s_delay_alu instid0(VALU_DEP_3) | instskip(NEXT) | instid1(VALU_DEP_2)
	v_cmp_eq_u64_e32 vcc_lo, s[4:5], v[6:7]
	v_cmp_eq_u64_e64 s0, s[6:7], v[8:9]
	s_delay_alu instid0(VALU_DEP_1) | instskip(NEXT) | instid1(SALU_CYCLE_1)
	s_and_b32 s0, vcc_lo, s0
	s_and_saveexec_b32 s0, s0
	buffer_store_b128 v[16:19], v5, s[4:7], 0 offen
                                        ; implicit-def: $vgpr16_vgpr17_vgpr18_vgpr19
                                        ; implicit-def: $vgpr5
	s_xor_b32 exec_lo, exec_lo, s0
	s_cbranch_execnz .LBB13_73
; %bb.74:
	s_mov_b32 exec_lo, s1
	s_clause 0x2
	flat_load_b32 v5, v[14:15] offset:32
	flat_load_b32 v16, v[14:15] offset:20
	;; [unrolled: 1-line block ×3, first 2 shown]
	s_mov_b32 s1, exec_lo
	s_waitcnt vmcnt(2) lgkmcnt(2)
	v_cmp_gt_i32_e32 vcc_lo, v5, v192
	s_waitcnt vmcnt(1) lgkmcnt(1)
	v_cmp_gt_i32_e64 s0, v16, v164
	s_waitcnt vmcnt(0) lgkmcnt(0)
	v_add_nc_u32_e32 v4, v17, v4
	s_delay_alu instid0(VALU_DEP_2) | instskip(NEXT) | instid1(SALU_CYCLE_1)
	s_and_b32 s0, s0, vcc_lo
	v_cndmask_b32_e64 v5, 0x80000000, 0, s0
	s_delay_alu instid0(VALU_DEP_1)
	v_lshl_add_u32 v5, v4, 2, v5
.LBB13_75:                              ; =>This Inner Loop Header: Depth=1
	v_readfirstlane_b32 s4, v6
	v_readfirstlane_b32 s5, v7
	;; [unrolled: 1-line block ×4, first 2 shown]
	s_delay_alu instid0(VALU_DEP_3) | instskip(NEXT) | instid1(VALU_DEP_2)
	v_cmp_eq_u64_e32 vcc_lo, s[4:5], v[6:7]
	v_cmp_eq_u64_e64 s0, s[6:7], v[8:9]
	s_delay_alu instid0(VALU_DEP_1) | instskip(NEXT) | instid1(SALU_CYCLE_1)
	s_and_b32 s0, vcc_lo, s0
	s_and_saveexec_b32 s0, s0
	buffer_store_b128 v[48:51], v5, s[4:7], 0 offen
                                        ; implicit-def: $vgpr48_vgpr49_vgpr50_vgpr51
                                        ; implicit-def: $vgpr5
	s_xor_b32 exec_lo, exec_lo, s0
	s_cbranch_execnz .LBB13_75
; %bb.76:
	s_mov_b32 exec_lo, s1
	s_clause 0x2
	flat_load_b32 v5, v[14:15] offset:32
	flat_load_b32 v16, v[14:15] offset:20
	flat_load_b32 v17, v[14:15] offset:12
	s_mov_b32 s1, exec_lo
	s_waitcnt vmcnt(2) lgkmcnt(2)
	v_cmp_gt_i32_e32 vcc_lo, v5, v193
	s_waitcnt vmcnt(1) lgkmcnt(1)
	v_cmp_gt_i32_e64 s0, v16, v164
	s_waitcnt vmcnt(0) lgkmcnt(0)
	v_lshl_add_u32 v4, v17, 6, v4
	s_delay_alu instid0(VALU_DEP_2) | instskip(NEXT) | instid1(SALU_CYCLE_1)
	s_and_b32 s0, s0, vcc_lo
	v_cndmask_b32_e64 v5, 0x80000000, 0, s0
	s_delay_alu instid0(VALU_DEP_1)
	v_lshl_add_u32 v5, v4, 2, v5
.LBB13_77:                              ; =>This Inner Loop Header: Depth=1
	v_readfirstlane_b32 s4, v6
	v_readfirstlane_b32 s5, v7
	v_readfirstlane_b32 s6, v8
	v_readfirstlane_b32 s7, v9
	s_delay_alu instid0(VALU_DEP_3) | instskip(NEXT) | instid1(VALU_DEP_2)
	v_cmp_eq_u64_e32 vcc_lo, s[4:5], v[6:7]
	v_cmp_eq_u64_e64 s0, s[6:7], v[8:9]
	s_delay_alu instid0(VALU_DEP_1) | instskip(NEXT) | instid1(SALU_CYCLE_1)
	s_and_b32 s0, vcc_lo, s0
	s_and_saveexec_b32 s0, s0
	buffer_store_b128 v[64:67], v5, s[4:7], 0 offen
                                        ; implicit-def: $vgpr64_vgpr65_vgpr66_vgpr67
                                        ; implicit-def: $vgpr5
	s_xor_b32 exec_lo, exec_lo, s0
	s_cbranch_execnz .LBB13_77
; %bb.78:
	s_mov_b32 exec_lo, s1
	s_clause 0x2
	flat_load_b32 v5, v[14:15] offset:32
	flat_load_b32 v16, v[14:15] offset:20
	;; [unrolled: 1-line block ×3, first 2 shown]
	s_mov_b32 s1, exec_lo
	s_waitcnt vmcnt(2) lgkmcnt(2)
	v_cmp_gt_i32_e32 vcc_lo, v5, v193
	s_waitcnt vmcnt(1) lgkmcnt(1)
	v_cmp_gt_i32_e64 s0, v16, v150
	s_waitcnt vmcnt(0) lgkmcnt(0)
	v_add_nc_u32_e32 v4, v17, v4
	s_delay_alu instid0(VALU_DEP_2) | instskip(NEXT) | instid1(SALU_CYCLE_1)
	s_and_b32 s0, s0, vcc_lo
	v_cndmask_b32_e64 v5, 0x80000000, 0, s0
	s_delay_alu instid0(VALU_DEP_1)
	v_lshl_add_u32 v5, v4, 2, v5
.LBB13_79:                              ; =>This Inner Loop Header: Depth=1
	v_readfirstlane_b32 s4, v6
	v_readfirstlane_b32 s5, v7
	;; [unrolled: 1-line block ×4, first 2 shown]
	s_delay_alu instid0(VALU_DEP_3) | instskip(NEXT) | instid1(VALU_DEP_2)
	v_cmp_eq_u64_e32 vcc_lo, s[4:5], v[6:7]
	v_cmp_eq_u64_e64 s0, s[6:7], v[8:9]
	s_delay_alu instid0(VALU_DEP_1) | instskip(NEXT) | instid1(SALU_CYCLE_1)
	s_and_b32 s0, vcc_lo, s0
	s_and_saveexec_b32 s0, s0
	buffer_store_b128 v[80:83], v5, s[4:7], 0 offen
                                        ; implicit-def: $vgpr80_vgpr81_vgpr82_vgpr83
                                        ; implicit-def: $vgpr5
	s_xor_b32 exec_lo, exec_lo, s0
	s_cbranch_execnz .LBB13_79
; %bb.80:
	s_mov_b32 exec_lo, s1
	s_clause 0x2
	flat_load_b32 v5, v[14:15] offset:12
	flat_load_b32 v16, v[14:15] offset:32
	;; [unrolled: 1-line block ×3, first 2 shown]
	s_mov_b32 s1, exec_lo
	s_waitcnt vmcnt(2) lgkmcnt(2)
	v_lshlrev_b32_e32 v5, 6, v5
	s_waitcnt vmcnt(1) lgkmcnt(1)
	v_cmp_gt_i32_e32 vcc_lo, v16, v192
	s_waitcnt vmcnt(0) lgkmcnt(0)
	v_cmp_gt_i32_e64 s0, v17, v150
	v_sub_nc_u32_e32 v4, v4, v5
	s_delay_alu instid0(VALU_DEP_2) | instskip(NEXT) | instid1(SALU_CYCLE_1)
	s_and_b32 s0, s0, vcc_lo
	v_cndmask_b32_e64 v16, 0x80000000, 0, s0
	s_delay_alu instid0(VALU_DEP_2) | instskip(NEXT) | instid1(VALU_DEP_1)
	v_lshlrev_b32_e32 v5, 2, v4
	v_add_nc_u32_e32 v16, v16, v5
.LBB13_81:                              ; =>This Inner Loop Header: Depth=1
	v_readfirstlane_b32 s4, v6
	v_readfirstlane_b32 s5, v7
	;; [unrolled: 1-line block ×4, first 2 shown]
	s_delay_alu instid0(VALU_DEP_3) | instskip(NEXT) | instid1(VALU_DEP_2)
	v_cmp_eq_u64_e32 vcc_lo, s[4:5], v[6:7]
	v_cmp_eq_u64_e64 s0, s[6:7], v[8:9]
	s_delay_alu instid0(VALU_DEP_1) | instskip(NEXT) | instid1(SALU_CYCLE_1)
	s_and_b32 s0, vcc_lo, s0
	s_and_saveexec_b32 s0, s0
	buffer_store_b128 v[32:35], v16, s[4:7], 0 offen
                                        ; implicit-def: $vgpr32_vgpr33_vgpr34_vgpr35
                                        ; implicit-def: $vgpr16
	s_xor_b32 exec_lo, exec_lo, s0
	s_cbranch_execnz .LBB13_81
; %bb.82:
	s_mov_b32 exec_lo, s1
	s_clause 0x2
	flat_load_b32 v17, v[14:15] offset:32
	flat_load_b32 v18, v[14:15] offset:20
	;; [unrolled: 1-line block ×3, first 2 shown]
	s_mov_b32 s1, exec_lo
	s_waitcnt vmcnt(2) lgkmcnt(2)
	v_cmp_gt_i32_e32 vcc_lo, v17, v192
	s_waitcnt vmcnt(1) lgkmcnt(1)
	v_cmp_gt_i32_e64 s0, v18, v130
	s_waitcnt vmcnt(0) lgkmcnt(0)
	v_lshlrev_b32_e32 v17, 8, v16
	s_delay_alu instid0(VALU_DEP_2) | instskip(NEXT) | instid1(SALU_CYCLE_1)
	s_and_b32 s0, s0, vcc_lo
	v_cndmask_b32_e64 v18, 0x80000000, 0, s0
	s_delay_alu instid0(VALU_DEP_1)
	v_add3_u32 v5, v17, v5, v18
.LBB13_83:                              ; =>This Inner Loop Header: Depth=1
	v_readfirstlane_b32 s4, v6
	v_readfirstlane_b32 s5, v7
	;; [unrolled: 1-line block ×4, first 2 shown]
	s_delay_alu instid0(VALU_DEP_3) | instskip(NEXT) | instid1(VALU_DEP_2)
	v_cmp_eq_u64_e32 vcc_lo, s[4:5], v[6:7]
	v_cmp_eq_u64_e64 s0, s[6:7], v[8:9]
	s_delay_alu instid0(VALU_DEP_1) | instskip(NEXT) | instid1(SALU_CYCLE_1)
	s_and_b32 s0, vcc_lo, s0
	s_and_saveexec_b32 s0, s0
	buffer_store_b128 v[100:103], v5, s[4:7], 0 offen
                                        ; implicit-def: $vgpr100_vgpr101_vgpr102_vgpr103
                                        ; implicit-def: $vgpr5
	s_xor_b32 exec_lo, exec_lo, s0
	s_cbranch_execnz .LBB13_83
; %bb.84:
	s_mov_b32 exec_lo, s1
	s_clause 0x2
	flat_load_b32 v5, v[14:15] offset:12
	flat_load_b32 v17, v[14:15] offset:32
	;; [unrolled: 1-line block ×3, first 2 shown]
	s_mov_b32 s1, exec_lo
	s_waitcnt vmcnt(2) lgkmcnt(2)
	v_add_nc_u32_e32 v5, v5, v16
	s_waitcnt vmcnt(1) lgkmcnt(1)
	v_cmp_gt_i32_e32 vcc_lo, v17, v193
	s_waitcnt vmcnt(0) lgkmcnt(0)
	v_cmp_gt_i32_e64 s0, v18, v130
	v_lshl_add_u32 v4, v5, 6, v4
	s_delay_alu instid0(VALU_DEP_2) | instskip(NEXT) | instid1(SALU_CYCLE_1)
	s_and_b32 s0, s0, vcc_lo
	v_cndmask_b32_e64 v5, 0x80000000, 0, s0
	s_delay_alu instid0(VALU_DEP_1)
	v_lshl_add_u32 v5, v4, 2, v5
.LBB13_85:                              ; =>This Inner Loop Header: Depth=1
	v_readfirstlane_b32 s4, v6
	v_readfirstlane_b32 s5, v7
	;; [unrolled: 1-line block ×4, first 2 shown]
	s_delay_alu instid0(VALU_DEP_3) | instskip(NEXT) | instid1(VALU_DEP_2)
	v_cmp_eq_u64_e32 vcc_lo, s[4:5], v[6:7]
	v_cmp_eq_u64_e64 s0, s[6:7], v[8:9]
	s_delay_alu instid0(VALU_DEP_1) | instskip(NEXT) | instid1(SALU_CYCLE_1)
	s_and_b32 s0, vcc_lo, s0
	s_and_saveexec_b32 s0, s0
	buffer_store_b128 v[20:23], v5, s[4:7], 0 offen
                                        ; implicit-def: $vgpr20_vgpr21_vgpr22_vgpr23
                                        ; implicit-def: $vgpr5
	s_xor_b32 exec_lo, exec_lo, s0
	s_cbranch_execnz .LBB13_85
; %bb.86:
	s_mov_b32 exec_lo, s1
	s_clause 0x2
	flat_load_b32 v5, v[14:15] offset:32
	flat_load_b32 v16, v[14:15] offset:20
	;; [unrolled: 1-line block ×3, first 2 shown]
	s_mov_b32 s1, exec_lo
	s_waitcnt vmcnt(2) lgkmcnt(2)
	v_cmp_gt_i32_e32 vcc_lo, v5, v193
	s_waitcnt vmcnt(1) lgkmcnt(1)
	v_cmp_ge_i32_e64 s0, v16, v130
	s_waitcnt vmcnt(0) lgkmcnt(0)
	v_sub_nc_u32_e32 v4, v4, v17
	s_delay_alu instid0(VALU_DEP_2) | instskip(NEXT) | instid1(SALU_CYCLE_1)
	s_and_b32 s0, s0, vcc_lo
	v_cndmask_b32_e64 v5, 0x80000000, 0, s0
	s_delay_alu instid0(VALU_DEP_1)
	v_lshl_add_u32 v5, v4, 2, v5
.LBB13_87:                              ; =>This Inner Loop Header: Depth=1
	v_readfirstlane_b32 s4, v6
	v_readfirstlane_b32 s5, v7
	;; [unrolled: 1-line block ×4, first 2 shown]
	s_delay_alu instid0(VALU_DEP_3) | instskip(NEXT) | instid1(VALU_DEP_2)
	v_cmp_eq_u64_e32 vcc_lo, s[4:5], v[6:7]
	v_cmp_eq_u64_e64 s0, s[6:7], v[8:9]
	s_delay_alu instid0(VALU_DEP_1) | instskip(NEXT) | instid1(SALU_CYCLE_1)
	s_and_b32 s0, vcc_lo, s0
	s_and_saveexec_b32 s0, s0
	buffer_store_b128 v[96:99], v5, s[4:7], 0 offen
                                        ; implicit-def: $vgpr96_vgpr97_vgpr98_vgpr99
                                        ; implicit-def: $vgpr5
	s_xor_b32 exec_lo, exec_lo, s0
	s_cbranch_execnz .LBB13_87
; %bb.88:
	s_mov_b32 exec_lo, s1
	s_clause 0x2
	flat_load_b32 v5, v[14:15] offset:12
	flat_load_b32 v16, v[14:15] offset:32
	;; [unrolled: 1-line block ×3, first 2 shown]
	s_mov_b32 s1, exec_lo
	s_waitcnt vmcnt(2) lgkmcnt(2)
	v_lshlrev_b32_e32 v5, 6, v5
	s_waitcnt vmcnt(1) lgkmcnt(1)
	v_cmp_gt_i32_e32 vcc_lo, v16, v192
	s_waitcnt vmcnt(0) lgkmcnt(0)
	v_cmp_gt_i32_e64 s0, v17, v129
	v_sub_nc_u32_e32 v4, v4, v5
	s_delay_alu instid0(VALU_DEP_2) | instskip(NEXT) | instid1(SALU_CYCLE_1)
	s_and_b32 s0, s0, vcc_lo
	v_cndmask_b32_e64 v5, 0x80000000, 0, s0
	s_delay_alu instid0(VALU_DEP_1)
	v_lshl_add_u32 v5, v4, 2, v5
.LBB13_89:                              ; =>This Inner Loop Header: Depth=1
	v_readfirstlane_b32 s4, v6
	v_readfirstlane_b32 s5, v7
	;; [unrolled: 1-line block ×4, first 2 shown]
	s_delay_alu instid0(VALU_DEP_3) | instskip(NEXT) | instid1(VALU_DEP_2)
	v_cmp_eq_u64_e32 vcc_lo, s[4:5], v[6:7]
	v_cmp_eq_u64_e64 s0, s[6:7], v[8:9]
	s_delay_alu instid0(VALU_DEP_1) | instskip(NEXT) | instid1(SALU_CYCLE_1)
	s_and_b32 s0, vcc_lo, s0
	s_and_saveexec_b32 s0, s0
	buffer_store_b128 v[84:87], v5, s[4:7], 0 offen
                                        ; implicit-def: $vgpr84_vgpr85_vgpr86_vgpr87
                                        ; implicit-def: $vgpr5
	s_xor_b32 exec_lo, exec_lo, s0
	s_cbranch_execnz .LBB13_89
; %bb.90:
	s_mov_b32 exec_lo, s1
	s_clause 0x2
	flat_load_b32 v5, v[14:15] offset:32
	flat_load_b32 v16, v[14:15] offset:20
	;; [unrolled: 1-line block ×3, first 2 shown]
	s_mov_b32 s1, exec_lo
	s_waitcnt vmcnt(2) lgkmcnt(2)
	v_cmp_gt_i32_e32 vcc_lo, v5, v192
	s_waitcnt vmcnt(1) lgkmcnt(1)
	v_cmp_ge_i32_e64 s0, v16, v129
	s_waitcnt vmcnt(0) lgkmcnt(0)
	v_sub_nc_u32_e32 v4, v4, v17
	s_delay_alu instid0(VALU_DEP_2) | instskip(NEXT) | instid1(SALU_CYCLE_1)
	s_and_b32 s0, s0, vcc_lo
	v_cndmask_b32_e64 v5, 0x80000000, 0, s0
	s_delay_alu instid0(VALU_DEP_1)
	v_lshl_add_u32 v5, v4, 2, v5
.LBB13_91:                              ; =>This Inner Loop Header: Depth=1
	v_readfirstlane_b32 s4, v6
	v_readfirstlane_b32 s5, v7
	;; [unrolled: 1-line block ×4, first 2 shown]
	s_delay_alu instid0(VALU_DEP_3) | instskip(NEXT) | instid1(VALU_DEP_2)
	v_cmp_eq_u64_e32 vcc_lo, s[4:5], v[6:7]
	v_cmp_eq_u64_e64 s0, s[6:7], v[8:9]
	s_delay_alu instid0(VALU_DEP_1) | instskip(NEXT) | instid1(SALU_CYCLE_1)
	s_and_b32 s0, vcc_lo, s0
	s_and_saveexec_b32 s0, s0
	buffer_store_b128 v[36:39], v5, s[4:7], 0 offen
                                        ; implicit-def: $vgpr36_vgpr37_vgpr38_vgpr39
                                        ; implicit-def: $vgpr5
	s_xor_b32 exec_lo, exec_lo, s0
	s_cbranch_execnz .LBB13_91
; %bb.92:
	s_mov_b32 exec_lo, s1
	s_clause 0x2
	flat_load_b32 v5, v[14:15] offset:32
	flat_load_b32 v16, v[14:15] offset:20
	;; [unrolled: 1-line block ×3, first 2 shown]
	s_mov_b32 s1, exec_lo
	s_waitcnt vmcnt(2) lgkmcnt(2)
	v_cmp_gt_i32_e32 vcc_lo, v5, v193
	s_waitcnt vmcnt(1) lgkmcnt(1)
	v_cmp_gt_i32_e64 s0, v16, v134
	s_waitcnt vmcnt(0) lgkmcnt(0)
	v_lshl_add_u32 v4, v17, 6, v4
	s_delay_alu instid0(VALU_DEP_2) | instskip(NEXT) | instid1(SALU_CYCLE_1)
	s_and_b32 s0, s0, vcc_lo
	v_cndmask_b32_e64 v5, 0x80000000, 0, s0
	s_delay_alu instid0(VALU_DEP_1)
	v_lshl_add_u32 v5, v4, 2, v5
.LBB13_93:                              ; =>This Inner Loop Header: Depth=1
	v_readfirstlane_b32 s4, v6
	v_readfirstlane_b32 s5, v7
	;; [unrolled: 1-line block ×4, first 2 shown]
	s_delay_alu instid0(VALU_DEP_3) | instskip(NEXT) | instid1(VALU_DEP_2)
	v_cmp_eq_u64_e32 vcc_lo, s[4:5], v[6:7]
	v_cmp_eq_u64_e64 s0, s[6:7], v[8:9]
	s_delay_alu instid0(VALU_DEP_1) | instskip(NEXT) | instid1(SALU_CYCLE_1)
	s_and_b32 s0, vcc_lo, s0
	s_and_saveexec_b32 s0, s0
	buffer_store_b128 v[52:55], v5, s[4:7], 0 offen
                                        ; implicit-def: $vgpr52_vgpr53_vgpr54_vgpr55
                                        ; implicit-def: $vgpr5
	s_xor_b32 exec_lo, exec_lo, s0
	s_cbranch_execnz .LBB13_93
; %bb.94:
	s_mov_b32 exec_lo, s1
	s_clause 0x2
	flat_load_b32 v5, v[14:15] offset:8
	flat_load_b32 v16, v[14:15] offset:32
	;; [unrolled: 1-line block ×3, first 2 shown]
	s_mov_b32 s1, exec_lo
	s_waitcnt vmcnt(2) lgkmcnt(2)
	v_sub_nc_u32_e32 v4, v4, v5
	s_waitcnt vmcnt(1) lgkmcnt(1)
	v_cmp_gt_i32_e32 vcc_lo, v16, v193
	s_waitcnt vmcnt(0) lgkmcnt(0)
	v_cmp_ge_i32_e64 s0, v17, v134
	v_lshlrev_b32_e32 v4, 2, v4
	s_delay_alu instid0(VALU_DEP_2) | instskip(NEXT) | instid1(SALU_CYCLE_1)
	s_and_b32 s0, s0, vcc_lo
	v_cndmask_b32_e64 v5, 0x80000000, 0, s0
	s_delay_alu instid0(VALU_DEP_1)
	v_add_nc_u32_e32 v5, v5, v4
.LBB13_95:                              ; =>This Inner Loop Header: Depth=1
	v_readfirstlane_b32 s4, v6
	v_readfirstlane_b32 s5, v7
	v_readfirstlane_b32 s6, v8
	v_readfirstlane_b32 s7, v9
	s_delay_alu instid0(VALU_DEP_3) | instskip(NEXT) | instid1(VALU_DEP_2)
	v_cmp_eq_u64_e32 vcc_lo, s[4:5], v[6:7]
	v_cmp_eq_u64_e64 s0, s[6:7], v[8:9]
	s_delay_alu instid0(VALU_DEP_1) | instskip(NEXT) | instid1(SALU_CYCLE_1)
	s_and_b32 s0, vcc_lo, s0
	s_and_saveexec_b32 s0, s0
	buffer_store_b128 v[10:13], v5, s[4:7], 0 offen
                                        ; implicit-def: $vgpr10_vgpr11_vgpr12_vgpr13
                                        ; implicit-def: $vgpr5
	s_xor_b32 exec_lo, exec_lo, s0
	s_cbranch_execnz .LBB13_95
; %bb.96:
	s_mov_b32 exec_lo, s1
	s_clause 0x2
	flat_load_b32 v5, v[14:15] offset:32
	flat_load_b32 v10, v[14:15] offset:12
	;; [unrolled: 1-line block ×3, first 2 shown]
	s_mov_b32 s1, exec_lo
	s_waitcnt vmcnt(2) lgkmcnt(2)
	v_cmp_gt_i32_e32 vcc_lo, v5, v192
	s_waitcnt vmcnt(1) lgkmcnt(1)
	v_lshlrev_b32_e32 v5, 8, v10
	s_waitcnt vmcnt(0) lgkmcnt(0)
	v_cmp_gt_i32_e64 s0, v11, v146
	s_delay_alu instid0(VALU_DEP_2) | instskip(NEXT) | instid1(VALU_DEP_2)
	v_sub_nc_u32_e32 v4, v4, v5
	s_and_b32 s0, s0, vcc_lo
	s_delay_alu instid0(SALU_CYCLE_1) | instskip(NEXT) | instid1(VALU_DEP_1)
	v_cndmask_b32_e64 v5, 0x80000000, 0, s0
	v_add_nc_u32_e32 v4, v4, v5
.LBB13_97:                              ; =>This Inner Loop Header: Depth=1
	v_readfirstlane_b32 s4, v6
	v_readfirstlane_b32 s5, v7
	;; [unrolled: 1-line block ×4, first 2 shown]
	s_delay_alu instid0(VALU_DEP_3) | instskip(NEXT) | instid1(VALU_DEP_2)
	v_cmp_eq_u64_e32 vcc_lo, s[4:5], v[6:7]
	v_cmp_eq_u64_e64 s0, s[6:7], v[8:9]
	s_delay_alu instid0(VALU_DEP_1) | instskip(NEXT) | instid1(SALU_CYCLE_1)
	s_and_b32 s0, vcc_lo, s0
	s_and_saveexec_b32 s0, s0
	buffer_store_b128 v[0:3], v4, s[4:7], 0 offen
                                        ; implicit-def: $vgpr6_vgpr7_vgpr8_vgpr9
                                        ; implicit-def: $vgpr0_vgpr1_vgpr2_vgpr3
                                        ; implicit-def: $vgpr4
	s_xor_b32 exec_lo, exec_lo, s0
	s_cbranch_execnz .LBB13_97
; %bb.98:
	s_mov_b32 exec_lo, s1
	s_setpc_b64 s[30:31]
.Lfunc_end13:
	.size	_ZN2ck32GridwiseGemmDlMultipleD_km_kn_mnILi256EffNS_5TupleIJfEEEfNS_16tensor_operation12element_wise11PassThroughES5_NS4_7AddReluELNS_25InMemoryDataOperationEnumE0ENS_16TensorDescriptorINS1_IJNS_5EmbedINS1_IJiiiiiEEESA_Lb0EEENS_11PassThroughIiEENS_3PadIiiiLb0EEESF_SF_SD_SD_NS9_INS1_IJiiEEESG_Lb0EEESH_SH_SD_NS_23Merge_v2_magic_divisionINS1_IJiiiiEEEEESK_NS_8RightPadIiiLb0EEESM_NS_7UnMergeISG_Lb0EEESD_EEENS1_IJNS_8SequenceIJLi0EEEENSQ_IJLi1EEEENSQ_IJLi2EEEENSQ_IJLi3EEEENSQ_IJLi4EEEENSQ_IJLi5EEEENSQ_IJLi6EEEENSQ_IJLi7EEEENSQ_IJLi8EEEENSQ_IJLi9EEEENSQ_IJLi10EEEENSQ_IJLi11ELi13ELi15ELi17EEEENSQ_IJLi12ELi14ELi16ELi18EEEENSQ_IJLi19EEEENSQ_IJLi20EEEENSQ_IJLi22EEEENSQ_IJLi21EEEEEEENS1_IJNSQ_IJLi1ELi2ELi3ELi4ELi5EEEESX_SY_SZ_S10_S11_NSQ_IJLi11EEEENSQ_IJLi12ELi13EEEENSQ_IJLi14ELi15EEEENSQ_IJLi16ELi17EEEENSQ_IJLi18EEEES14_S15_S17_S16_NSQ_IJLi23ELi24EEEENSQ_IJLi25EEEEEEENSQ_IJLi23ELi25ELi24EEEElEENS8_INS1_IJSO_SM_SM_SO_SD_EEENS1_IJSR_SS_ST_SV_SU_EEENS1_IJNSQ_IJLi1ELi2EEEESU_SV_NSQ_IJLi5ELi6EEEESY_EEENSQ_IJLi5ELi7ELi6EEEElEENS8_INS1_IJSH_SM_SM_EEENS1_IJSR_SS_ST_EEENS1_IJS1M_SU_SV_EEENSQ_IJLi3ELi4EEEElEELi128ELi128ELi16ELi1ELi4ELi4ELi1ENSQ_IJLi8ELi2EEEES1W_NSQ_IJLi8ELi1ELi1ELi1EEEENSQ_IJLi2ELi1ELi128ELi1EEEENSQ_IJLi1ELi2ELi0ELi3EEEES1Z_NSQ_IJLi4ELi1ELi1ELi1EEEES1Z_NSQ_IJLi1ELi1ELi1ELi1EEEES1X_S1Y_S1Z_S1Z_S20_S1Z_S21_NSQ_IJLi0ELi1ELi2ELi3ELi4ELi5EEEELi5ELi4EE3RunINS1_IJNS8_INS1_IJSH_SM_SM_NSN_INS1_IJiNS_17integral_constantIiLi2EEENS25_IiLi64EEEEEELb0EEES29_EEENS1_IJSR_SS_ST_SU_SV_EEENS1_IJS1M_SU_SV_NSQ_IJLi5ELi6ELi7EEEENSQ_IJLi8ELi9ELi10EEEEEEENSQ_IJLi5ELi6ELi7ELi8ELi9ELi10EEEElEEEEELb1ELb1ENS_31BlockToCTileMap_M00_N00_M01_N01ILi128ELi128ES1V_Lb0EEEEEvPKfS2L_NS1_IJS2L_EEEPfPvRKS5_S2Q_RKS6_RKNS8_INS1_IJSB_SD_SF_SF_SF_SD_SD_SH_SH_SH_SD_SK_SK_SM_SM_SO_SD_SD_NSN_INS1_IJiNS25_IiLi128EEEEEELb0EEENSC_INS25_IiLi1EEEEEEEENS1_IJSR_SS_ST_SU_SV_SW_SX_SY_SZ_S10_S11_S12_S13_S14_S15_S16_S17_NSQ_IJLi23EEEES1G_NSQ_IJLi24EEEEEEENS1_IJS19_SX_SY_SZ_S10_S11_S1A_S1B_S1C_S1D_S1E_S14_S15_S17_S16_S1F_S1G_NSQ_IJLi26EEEENSQ_IJLi27ELi28EEEENSQ_IJLi29EEEEEEENSQ_IJLi26ELi27ELi28ELi29EEEElEERKNS8_INS1_IJSO_SM_SM_SO_SD_SD_S2V_S2X_EEENS1_IJSR_SS_ST_SV_SU_SW_SY_SX_EEENS1_IJS1M_SU_SV_S1N_SY_SZ_NSQ_IJLi9ELi10EEEES1A_EEENSQ_IJLi8ELi9ELi10ELi11EEEElEERKT_RKS2G_RKT2_NS25_IbXT0_EEENS25_IbXT1_EEE, .Lfunc_end13-_ZN2ck32GridwiseGemmDlMultipleD_km_kn_mnILi256EffNS_5TupleIJfEEEfNS_16tensor_operation12element_wise11PassThroughES5_NS4_7AddReluELNS_25InMemoryDataOperationEnumE0ENS_16TensorDescriptorINS1_IJNS_5EmbedINS1_IJiiiiiEEESA_Lb0EEENS_11PassThroughIiEENS_3PadIiiiLb0EEESF_SF_SD_SD_NS9_INS1_IJiiEEESG_Lb0EEESH_SH_SD_NS_23Merge_v2_magic_divisionINS1_IJiiiiEEEEESK_NS_8RightPadIiiLb0EEESM_NS_7UnMergeISG_Lb0EEESD_EEENS1_IJNS_8SequenceIJLi0EEEENSQ_IJLi1EEEENSQ_IJLi2EEEENSQ_IJLi3EEEENSQ_IJLi4EEEENSQ_IJLi5EEEENSQ_IJLi6EEEENSQ_IJLi7EEEENSQ_IJLi8EEEENSQ_IJLi9EEEENSQ_IJLi10EEEENSQ_IJLi11ELi13ELi15ELi17EEEENSQ_IJLi12ELi14ELi16ELi18EEEENSQ_IJLi19EEEENSQ_IJLi20EEEENSQ_IJLi22EEEENSQ_IJLi21EEEEEEENS1_IJNSQ_IJLi1ELi2ELi3ELi4ELi5EEEESX_SY_SZ_S10_S11_NSQ_IJLi11EEEENSQ_IJLi12ELi13EEEENSQ_IJLi14ELi15EEEENSQ_IJLi16ELi17EEEENSQ_IJLi18EEEES14_S15_S17_S16_NSQ_IJLi23ELi24EEEENSQ_IJLi25EEEEEEENSQ_IJLi23ELi25ELi24EEEElEENS8_INS1_IJSO_SM_SM_SO_SD_EEENS1_IJSR_SS_ST_SV_SU_EEENS1_IJNSQ_IJLi1ELi2EEEESU_SV_NSQ_IJLi5ELi6EEEESY_EEENSQ_IJLi5ELi7ELi6EEEElEENS8_INS1_IJSH_SM_SM_EEENS1_IJSR_SS_ST_EEENS1_IJS1M_SU_SV_EEENSQ_IJLi3ELi4EEEElEELi128ELi128ELi16ELi1ELi4ELi4ELi1ENSQ_IJLi8ELi2EEEES1W_NSQ_IJLi8ELi1ELi1ELi1EEEENSQ_IJLi2ELi1ELi128ELi1EEEENSQ_IJLi1ELi2ELi0ELi3EEEES1Z_NSQ_IJLi4ELi1ELi1ELi1EEEES1Z_NSQ_IJLi1ELi1ELi1ELi1EEEES1X_S1Y_S1Z_S1Z_S20_S1Z_S21_NSQ_IJLi0ELi1ELi2ELi3ELi4ELi5EEEELi5ELi4EE3RunINS1_IJNS8_INS1_IJSH_SM_SM_NSN_INS1_IJiNS_17integral_constantIiLi2EEENS25_IiLi64EEEEEELb0EEES29_EEENS1_IJSR_SS_ST_SU_SV_EEENS1_IJS1M_SU_SV_NSQ_IJLi5ELi6ELi7EEEENSQ_IJLi8ELi9ELi10EEEEEEENSQ_IJLi5ELi6ELi7ELi8ELi9ELi10EEEElEEEEELb1ELb1ENS_31BlockToCTileMap_M00_N00_M01_N01ILi128ELi128ES1V_Lb0EEEEEvPKfS2L_NS1_IJS2L_EEEPfPvRKS5_S2Q_RKS6_RKNS8_INS1_IJSB_SD_SF_SF_SF_SD_SD_SH_SH_SH_SD_SK_SK_SM_SM_SO_SD_SD_NSN_INS1_IJiNS25_IiLi128EEEEEELb0EEENSC_INS25_IiLi1EEEEEEEENS1_IJSR_SS_ST_SU_SV_SW_SX_SY_SZ_S10_S11_S12_S13_S14_S15_S16_S17_NSQ_IJLi23EEEES1G_NSQ_IJLi24EEEEEEENS1_IJS19_SX_SY_SZ_S10_S11_S1A_S1B_S1C_S1D_S1E_S14_S15_S17_S16_S1F_S1G_NSQ_IJLi26EEEENSQ_IJLi27ELi28EEEENSQ_IJLi29EEEEEEENSQ_IJLi26ELi27ELi28ELi29EEEElEERKNS8_INS1_IJSO_SM_SM_SO_SD_SD_S2V_S2X_EEENS1_IJSR_SS_ST_SV_SU_SW_SY_SX_EEENS1_IJS1M_SU_SV_S1N_SY_SZ_NSQ_IJLi9ELi10EEEES1A_EEENSQ_IJLi8ELi9ELi10ELi11EEEElEERKT_RKS2G_RKT2_NS25_IbXT0_EEENS25_IbXT1_EEE
                                        ; -- End function
	.section	.AMDGPU.csdata,"",@progbits
; Function info:
; codeLenInByte = 96756
; NumSgprs: 34
; NumVgprs: 246
; ScratchSize: 0
; MemoryBound: 0
	.section	.text._ZN2ck16tensor_operation6device12_GLOBAL__N_137kernel_grouped_conv_fwd_dl_multiple_dINS_32GridwiseGemmDlMultipleD_km_kn_mnILi256EffNS_5TupleIJfEEEfNS0_12element_wise11PassThroughES8_NS7_7AddReluELNS_25InMemoryDataOperationEnumE0ENS_16TensorDescriptorINS5_IJNS_5EmbedINS5_IJiiiiiEEESD_Lb0EEENS_11PassThroughIiEENS_3PadIiiiLb0EEESI_SI_SG_SG_NSC_INS5_IJiiEEESJ_Lb0EEESK_SK_SG_NS_23Merge_v2_magic_divisionINS5_IJiiiiEEEEESN_NS_8RightPadIiiLb0EEESP_NS_7UnMergeISJ_Lb0EEESG_EEENS5_IJNS_8SequenceIJLi0EEEENST_IJLi1EEEENST_IJLi2EEEENST_IJLi3EEEENST_IJLi4EEEENST_IJLi5EEEENST_IJLi6EEEENST_IJLi7EEEENST_IJLi8EEEENST_IJLi9EEEENST_IJLi10EEEENST_IJLi11ELi13ELi15ELi17EEEENST_IJLi12ELi14ELi16ELi18EEEENST_IJLi19EEEENST_IJLi20EEEENST_IJLi22EEEENST_IJLi21EEEEEEENS5_IJNST_IJLi1ELi2ELi3ELi4ELi5EEEES10_S11_S12_S13_S14_NST_IJLi11EEEENST_IJLi12ELi13EEEENST_IJLi14ELi15EEEENST_IJLi16ELi17EEEENST_IJLi18EEEES17_S18_S1A_S19_NST_IJLi23ELi24EEEENST_IJLi25EEEEEEENST_IJLi23ELi25ELi24EEEElEENSB_INS5_IJSR_SP_SP_SR_SG_EEENS5_IJSU_SV_SW_SY_SX_EEENS5_IJNST_IJLi1ELi2EEEESX_SY_NST_IJLi5ELi6EEEES11_EEENST_IJLi5ELi7ELi6EEEElEENSB_INS5_IJSK_SP_SP_EEENS5_IJSU_SV_SW_EEENS5_IJS1P_SX_SY_EEENST_IJLi3ELi4EEEElEELi128ELi128ELi16ELi1ELi4ELi4ELi1ENST_IJLi8ELi2EEEES1Z_NST_IJLi8ELi1ELi1ELi1EEEENST_IJLi2ELi1ELi128ELi1EEEENST_IJLi1ELi2ELi0ELi3EEEES22_NST_IJLi4ELi1ELi1ELi1EEEES22_NST_IJLi1ELi1ELi1ELi1EEEES20_S21_S22_S22_S23_S22_S24_NST_IJLi0ELi1ELi2ELi3ELi4ELi5EEEELi5ELi4EEEfNS5_IJPKfEEEfS8_S8_S9_NSB_INS5_IJSE_SG_SI_SI_SI_SG_SG_SK_SK_SK_SG_SN_SN_SP_SP_SR_SG_SG_NSQ_INS5_IJiNS_17integral_constantIiLi128EEEEEELb0EEENSF_INS2A_IiLi1EEEEEEEENS5_IJSU_SV_SW_SX_SY_SZ_S10_S11_S12_S13_S14_S15_S16_S17_S18_S19_S1A_NST_IJLi23EEEES1J_NST_IJLi24EEEEEEENS5_IJS1C_S10_S11_S12_S13_S14_S1D_S1E_S1F_S1G_S1H_S17_S18_S1A_S19_S1I_S1J_NST_IJLi26EEEENST_IJLi27ELi28EEEENST_IJLi29EEEEEEENST_IJLi26ELi27ELi28ELi29EEEElEENSB_INS5_IJSR_SP_SP_SR_SG_SG_S2D_S2F_EEENS5_IJSU_SV_SW_SY_SX_SZ_S11_S10_EEENS5_IJS1P_SX_SY_S1Q_S11_S12_NST_IJLi9ELi10EEEES1D_EEENST_IJLi8ELi9ELi10ELi11EEEElEENS5_IJNSB_INS5_IJSK_SP_SP_NSQ_INS5_IJiNS2A_IiLi2EEENS2A_IiLi64EEEEEELb0EEES2Z_EEENS5_IJSU_SV_SW_SX_SY_EEENS5_IJS1P_SX_SY_NST_IJLi5ELi6ELi7EEEENST_IJLi8ELi9ELi10EEEEEEENST_IJLi5ELi6ELi7ELi8ELi9ELi10EEEElEEEEES36_NS_31BlockToCTileMap_M00_N00_M01_N01ILi128ELi128ES1Y_Lb0EEENS1_30ComputePtrOffsetOfStridedBatchILi1ELi1ELi1EvEELb1ELb1EEEvPKT0_S3E_T1_PT2_T3_T4_T5_iT6_T7_T8_T9_T10_T11_,"axG",@progbits,_ZN2ck16tensor_operation6device12_GLOBAL__N_137kernel_grouped_conv_fwd_dl_multiple_dINS_32GridwiseGemmDlMultipleD_km_kn_mnILi256EffNS_5TupleIJfEEEfNS0_12element_wise11PassThroughES8_NS7_7AddReluELNS_25InMemoryDataOperationEnumE0ENS_16TensorDescriptorINS5_IJNS_5EmbedINS5_IJiiiiiEEESD_Lb0EEENS_11PassThroughIiEENS_3PadIiiiLb0EEESI_SI_SG_SG_NSC_INS5_IJiiEEESJ_Lb0EEESK_SK_SG_NS_23Merge_v2_magic_divisionINS5_IJiiiiEEEEESN_NS_8RightPadIiiLb0EEESP_NS_7UnMergeISJ_Lb0EEESG_EEENS5_IJNS_8SequenceIJLi0EEEENST_IJLi1EEEENST_IJLi2EEEENST_IJLi3EEEENST_IJLi4EEEENST_IJLi5EEEENST_IJLi6EEEENST_IJLi7EEEENST_IJLi8EEEENST_IJLi9EEEENST_IJLi10EEEENST_IJLi11ELi13ELi15ELi17EEEENST_IJLi12ELi14ELi16ELi18EEEENST_IJLi19EEEENST_IJLi20EEEENST_IJLi22EEEENST_IJLi21EEEEEEENS5_IJNST_IJLi1ELi2ELi3ELi4ELi5EEEES10_S11_S12_S13_S14_NST_IJLi11EEEENST_IJLi12ELi13EEEENST_IJLi14ELi15EEEENST_IJLi16ELi17EEEENST_IJLi18EEEES17_S18_S1A_S19_NST_IJLi23ELi24EEEENST_IJLi25EEEEEEENST_IJLi23ELi25ELi24EEEElEENSB_INS5_IJSR_SP_SP_SR_SG_EEENS5_IJSU_SV_SW_SY_SX_EEENS5_IJNST_IJLi1ELi2EEEESX_SY_NST_IJLi5ELi6EEEES11_EEENST_IJLi5ELi7ELi6EEEElEENSB_INS5_IJSK_SP_SP_EEENS5_IJSU_SV_SW_EEENS5_IJS1P_SX_SY_EEENST_IJLi3ELi4EEEElEELi128ELi128ELi16ELi1ELi4ELi4ELi1ENST_IJLi8ELi2EEEES1Z_NST_IJLi8ELi1ELi1ELi1EEEENST_IJLi2ELi1ELi128ELi1EEEENST_IJLi1ELi2ELi0ELi3EEEES22_NST_IJLi4ELi1ELi1ELi1EEEES22_NST_IJLi1ELi1ELi1ELi1EEEES20_S21_S22_S22_S23_S22_S24_NST_IJLi0ELi1ELi2ELi3ELi4ELi5EEEELi5ELi4EEEfNS5_IJPKfEEEfS8_S8_S9_NSB_INS5_IJSE_SG_SI_SI_SI_SG_SG_SK_SK_SK_SG_SN_SN_SP_SP_SR_SG_SG_NSQ_INS5_IJiNS_17integral_constantIiLi128EEEEEELb0EEENSF_INS2A_IiLi1EEEEEEEENS5_IJSU_SV_SW_SX_SY_SZ_S10_S11_S12_S13_S14_S15_S16_S17_S18_S19_S1A_NST_IJLi23EEEES1J_NST_IJLi24EEEEEEENS5_IJS1C_S10_S11_S12_S13_S14_S1D_S1E_S1F_S1G_S1H_S17_S18_S1A_S19_S1I_S1J_NST_IJLi26EEEENST_IJLi27ELi28EEEENST_IJLi29EEEEEEENST_IJLi26ELi27ELi28ELi29EEEElEENSB_INS5_IJSR_SP_SP_SR_SG_SG_S2D_S2F_EEENS5_IJSU_SV_SW_SY_SX_SZ_S11_S10_EEENS5_IJS1P_SX_SY_S1Q_S11_S12_NST_IJLi9ELi10EEEES1D_EEENST_IJLi8ELi9ELi10ELi11EEEElEENS5_IJNSB_INS5_IJSK_SP_SP_NSQ_INS5_IJiNS2A_IiLi2EEENS2A_IiLi64EEEEEELb0EEES2Z_EEENS5_IJSU_SV_SW_SX_SY_EEENS5_IJS1P_SX_SY_NST_IJLi5ELi6ELi7EEEENST_IJLi8ELi9ELi10EEEEEEENST_IJLi5ELi6ELi7ELi8ELi9ELi10EEEElEEEEES36_NS_31BlockToCTileMap_M00_N00_M01_N01ILi128ELi128ES1Y_Lb0EEENS1_30ComputePtrOffsetOfStridedBatchILi1ELi1ELi1EvEELb1ELb1EEEvPKT0_S3E_T1_PT2_T3_T4_T5_iT6_T7_T8_T9_T10_T11_,comdat
	.globl	_ZN2ck16tensor_operation6device12_GLOBAL__N_137kernel_grouped_conv_fwd_dl_multiple_dINS_32GridwiseGemmDlMultipleD_km_kn_mnILi256EffNS_5TupleIJfEEEfNS0_12element_wise11PassThroughES8_NS7_7AddReluELNS_25InMemoryDataOperationEnumE0ENS_16TensorDescriptorINS5_IJNS_5EmbedINS5_IJiiiiiEEESD_Lb0EEENS_11PassThroughIiEENS_3PadIiiiLb0EEESI_SI_SG_SG_NSC_INS5_IJiiEEESJ_Lb0EEESK_SK_SG_NS_23Merge_v2_magic_divisionINS5_IJiiiiEEEEESN_NS_8RightPadIiiLb0EEESP_NS_7UnMergeISJ_Lb0EEESG_EEENS5_IJNS_8SequenceIJLi0EEEENST_IJLi1EEEENST_IJLi2EEEENST_IJLi3EEEENST_IJLi4EEEENST_IJLi5EEEENST_IJLi6EEEENST_IJLi7EEEENST_IJLi8EEEENST_IJLi9EEEENST_IJLi10EEEENST_IJLi11ELi13ELi15ELi17EEEENST_IJLi12ELi14ELi16ELi18EEEENST_IJLi19EEEENST_IJLi20EEEENST_IJLi22EEEENST_IJLi21EEEEEEENS5_IJNST_IJLi1ELi2ELi3ELi4ELi5EEEES10_S11_S12_S13_S14_NST_IJLi11EEEENST_IJLi12ELi13EEEENST_IJLi14ELi15EEEENST_IJLi16ELi17EEEENST_IJLi18EEEES17_S18_S1A_S19_NST_IJLi23ELi24EEEENST_IJLi25EEEEEEENST_IJLi23ELi25ELi24EEEElEENSB_INS5_IJSR_SP_SP_SR_SG_EEENS5_IJSU_SV_SW_SY_SX_EEENS5_IJNST_IJLi1ELi2EEEESX_SY_NST_IJLi5ELi6EEEES11_EEENST_IJLi5ELi7ELi6EEEElEENSB_INS5_IJSK_SP_SP_EEENS5_IJSU_SV_SW_EEENS5_IJS1P_SX_SY_EEENST_IJLi3ELi4EEEElEELi128ELi128ELi16ELi1ELi4ELi4ELi1ENST_IJLi8ELi2EEEES1Z_NST_IJLi8ELi1ELi1ELi1EEEENST_IJLi2ELi1ELi128ELi1EEEENST_IJLi1ELi2ELi0ELi3EEEES22_NST_IJLi4ELi1ELi1ELi1EEEES22_NST_IJLi1ELi1ELi1ELi1EEEES20_S21_S22_S22_S23_S22_S24_NST_IJLi0ELi1ELi2ELi3ELi4ELi5EEEELi5ELi4EEEfNS5_IJPKfEEEfS8_S8_S9_NSB_INS5_IJSE_SG_SI_SI_SI_SG_SG_SK_SK_SK_SG_SN_SN_SP_SP_SR_SG_SG_NSQ_INS5_IJiNS_17integral_constantIiLi128EEEEEELb0EEENSF_INS2A_IiLi1EEEEEEEENS5_IJSU_SV_SW_SX_SY_SZ_S10_S11_S12_S13_S14_S15_S16_S17_S18_S19_S1A_NST_IJLi23EEEES1J_NST_IJLi24EEEEEEENS5_IJS1C_S10_S11_S12_S13_S14_S1D_S1E_S1F_S1G_S1H_S17_S18_S1A_S19_S1I_S1J_NST_IJLi26EEEENST_IJLi27ELi28EEEENST_IJLi29EEEEEEENST_IJLi26ELi27ELi28ELi29EEEElEENSB_INS5_IJSR_SP_SP_SR_SG_SG_S2D_S2F_EEENS5_IJSU_SV_SW_SY_SX_SZ_S11_S10_EEENS5_IJS1P_SX_SY_S1Q_S11_S12_NST_IJLi9ELi10EEEES1D_EEENST_IJLi8ELi9ELi10ELi11EEEElEENS5_IJNSB_INS5_IJSK_SP_SP_NSQ_INS5_IJiNS2A_IiLi2EEENS2A_IiLi64EEEEEELb0EEES2Z_EEENS5_IJSU_SV_SW_SX_SY_EEENS5_IJS1P_SX_SY_NST_IJLi5ELi6ELi7EEEENST_IJLi8ELi9ELi10EEEEEEENST_IJLi5ELi6ELi7ELi8ELi9ELi10EEEElEEEEES36_NS_31BlockToCTileMap_M00_N00_M01_N01ILi128ELi128ES1Y_Lb0EEENS1_30ComputePtrOffsetOfStridedBatchILi1ELi1ELi1EvEELb1ELb1EEEvPKT0_S3E_T1_PT2_T3_T4_T5_iT6_T7_T8_T9_T10_T11_ ; -- Begin function _ZN2ck16tensor_operation6device12_GLOBAL__N_137kernel_grouped_conv_fwd_dl_multiple_dINS_32GridwiseGemmDlMultipleD_km_kn_mnILi256EffNS_5TupleIJfEEEfNS0_12element_wise11PassThroughES8_NS7_7AddReluELNS_25InMemoryDataOperationEnumE0ENS_16TensorDescriptorINS5_IJNS_5EmbedINS5_IJiiiiiEEESD_Lb0EEENS_11PassThroughIiEENS_3PadIiiiLb0EEESI_SI_SG_SG_NSC_INS5_IJiiEEESJ_Lb0EEESK_SK_SG_NS_23Merge_v2_magic_divisionINS5_IJiiiiEEEEESN_NS_8RightPadIiiLb0EEESP_NS_7UnMergeISJ_Lb0EEESG_EEENS5_IJNS_8SequenceIJLi0EEEENST_IJLi1EEEENST_IJLi2EEEENST_IJLi3EEEENST_IJLi4EEEENST_IJLi5EEEENST_IJLi6EEEENST_IJLi7EEEENST_IJLi8EEEENST_IJLi9EEEENST_IJLi10EEEENST_IJLi11ELi13ELi15ELi17EEEENST_IJLi12ELi14ELi16ELi18EEEENST_IJLi19EEEENST_IJLi20EEEENST_IJLi22EEEENST_IJLi21EEEEEEENS5_IJNST_IJLi1ELi2ELi3ELi4ELi5EEEES10_S11_S12_S13_S14_NST_IJLi11EEEENST_IJLi12ELi13EEEENST_IJLi14ELi15EEEENST_IJLi16ELi17EEEENST_IJLi18EEEES17_S18_S1A_S19_NST_IJLi23ELi24EEEENST_IJLi25EEEEEEENST_IJLi23ELi25ELi24EEEElEENSB_INS5_IJSR_SP_SP_SR_SG_EEENS5_IJSU_SV_SW_SY_SX_EEENS5_IJNST_IJLi1ELi2EEEESX_SY_NST_IJLi5ELi6EEEES11_EEENST_IJLi5ELi7ELi6EEEElEENSB_INS5_IJSK_SP_SP_EEENS5_IJSU_SV_SW_EEENS5_IJS1P_SX_SY_EEENST_IJLi3ELi4EEEElEELi128ELi128ELi16ELi1ELi4ELi4ELi1ENST_IJLi8ELi2EEEES1Z_NST_IJLi8ELi1ELi1ELi1EEEENST_IJLi2ELi1ELi128ELi1EEEENST_IJLi1ELi2ELi0ELi3EEEES22_NST_IJLi4ELi1ELi1ELi1EEEES22_NST_IJLi1ELi1ELi1ELi1EEEES20_S21_S22_S22_S23_S22_S24_NST_IJLi0ELi1ELi2ELi3ELi4ELi5EEEELi5ELi4EEEfNS5_IJPKfEEEfS8_S8_S9_NSB_INS5_IJSE_SG_SI_SI_SI_SG_SG_SK_SK_SK_SG_SN_SN_SP_SP_SR_SG_SG_NSQ_INS5_IJiNS_17integral_constantIiLi128EEEEEELb0EEENSF_INS2A_IiLi1EEEEEEEENS5_IJSU_SV_SW_SX_SY_SZ_S10_S11_S12_S13_S14_S15_S16_S17_S18_S19_S1A_NST_IJLi23EEEES1J_NST_IJLi24EEEEEEENS5_IJS1C_S10_S11_S12_S13_S14_S1D_S1E_S1F_S1G_S1H_S17_S18_S1A_S19_S1I_S1J_NST_IJLi26EEEENST_IJLi27ELi28EEEENST_IJLi29EEEEEEENST_IJLi26ELi27ELi28ELi29EEEElEENSB_INS5_IJSR_SP_SP_SR_SG_SG_S2D_S2F_EEENS5_IJSU_SV_SW_SY_SX_SZ_S11_S10_EEENS5_IJS1P_SX_SY_S1Q_S11_S12_NST_IJLi9ELi10EEEES1D_EEENST_IJLi8ELi9ELi10ELi11EEEElEENS5_IJNSB_INS5_IJSK_SP_SP_NSQ_INS5_IJiNS2A_IiLi2EEENS2A_IiLi64EEEEEELb0EEES2Z_EEENS5_IJSU_SV_SW_SX_SY_EEENS5_IJS1P_SX_SY_NST_IJLi5ELi6ELi7EEEENST_IJLi8ELi9ELi10EEEEEEENST_IJLi5ELi6ELi7ELi8ELi9ELi10EEEElEEEEES36_NS_31BlockToCTileMap_M00_N00_M01_N01ILi128ELi128ES1Y_Lb0EEENS1_30ComputePtrOffsetOfStridedBatchILi1ELi1ELi1EvEELb1ELb1EEEvPKT0_S3E_T1_PT2_T3_T4_T5_iT6_T7_T8_T9_T10_T11_
	.p2align	8
	.type	_ZN2ck16tensor_operation6device12_GLOBAL__N_137kernel_grouped_conv_fwd_dl_multiple_dINS_32GridwiseGemmDlMultipleD_km_kn_mnILi256EffNS_5TupleIJfEEEfNS0_12element_wise11PassThroughES8_NS7_7AddReluELNS_25InMemoryDataOperationEnumE0ENS_16TensorDescriptorINS5_IJNS_5EmbedINS5_IJiiiiiEEESD_Lb0EEENS_11PassThroughIiEENS_3PadIiiiLb0EEESI_SI_SG_SG_NSC_INS5_IJiiEEESJ_Lb0EEESK_SK_SG_NS_23Merge_v2_magic_divisionINS5_IJiiiiEEEEESN_NS_8RightPadIiiLb0EEESP_NS_7UnMergeISJ_Lb0EEESG_EEENS5_IJNS_8SequenceIJLi0EEEENST_IJLi1EEEENST_IJLi2EEEENST_IJLi3EEEENST_IJLi4EEEENST_IJLi5EEEENST_IJLi6EEEENST_IJLi7EEEENST_IJLi8EEEENST_IJLi9EEEENST_IJLi10EEEENST_IJLi11ELi13ELi15ELi17EEEENST_IJLi12ELi14ELi16ELi18EEEENST_IJLi19EEEENST_IJLi20EEEENST_IJLi22EEEENST_IJLi21EEEEEEENS5_IJNST_IJLi1ELi2ELi3ELi4ELi5EEEES10_S11_S12_S13_S14_NST_IJLi11EEEENST_IJLi12ELi13EEEENST_IJLi14ELi15EEEENST_IJLi16ELi17EEEENST_IJLi18EEEES17_S18_S1A_S19_NST_IJLi23ELi24EEEENST_IJLi25EEEEEEENST_IJLi23ELi25ELi24EEEElEENSB_INS5_IJSR_SP_SP_SR_SG_EEENS5_IJSU_SV_SW_SY_SX_EEENS5_IJNST_IJLi1ELi2EEEESX_SY_NST_IJLi5ELi6EEEES11_EEENST_IJLi5ELi7ELi6EEEElEENSB_INS5_IJSK_SP_SP_EEENS5_IJSU_SV_SW_EEENS5_IJS1P_SX_SY_EEENST_IJLi3ELi4EEEElEELi128ELi128ELi16ELi1ELi4ELi4ELi1ENST_IJLi8ELi2EEEES1Z_NST_IJLi8ELi1ELi1ELi1EEEENST_IJLi2ELi1ELi128ELi1EEEENST_IJLi1ELi2ELi0ELi3EEEES22_NST_IJLi4ELi1ELi1ELi1EEEES22_NST_IJLi1ELi1ELi1ELi1EEEES20_S21_S22_S22_S23_S22_S24_NST_IJLi0ELi1ELi2ELi3ELi4ELi5EEEELi5ELi4EEEfNS5_IJPKfEEEfS8_S8_S9_NSB_INS5_IJSE_SG_SI_SI_SI_SG_SG_SK_SK_SK_SG_SN_SN_SP_SP_SR_SG_SG_NSQ_INS5_IJiNS_17integral_constantIiLi128EEEEEELb0EEENSF_INS2A_IiLi1EEEEEEEENS5_IJSU_SV_SW_SX_SY_SZ_S10_S11_S12_S13_S14_S15_S16_S17_S18_S19_S1A_NST_IJLi23EEEES1J_NST_IJLi24EEEEEEENS5_IJS1C_S10_S11_S12_S13_S14_S1D_S1E_S1F_S1G_S1H_S17_S18_S1A_S19_S1I_S1J_NST_IJLi26EEEENST_IJLi27ELi28EEEENST_IJLi29EEEEEEENST_IJLi26ELi27ELi28ELi29EEEElEENSB_INS5_IJSR_SP_SP_SR_SG_SG_S2D_S2F_EEENS5_IJSU_SV_SW_SY_SX_SZ_S11_S10_EEENS5_IJS1P_SX_SY_S1Q_S11_S12_NST_IJLi9ELi10EEEES1D_EEENST_IJLi8ELi9ELi10ELi11EEEElEENS5_IJNSB_INS5_IJSK_SP_SP_NSQ_INS5_IJiNS2A_IiLi2EEENS2A_IiLi64EEEEEELb0EEES2Z_EEENS5_IJSU_SV_SW_SX_SY_EEENS5_IJS1P_SX_SY_NST_IJLi5ELi6ELi7EEEENST_IJLi8ELi9ELi10EEEEEEENST_IJLi5ELi6ELi7ELi8ELi9ELi10EEEElEEEEES36_NS_31BlockToCTileMap_M00_N00_M01_N01ILi128ELi128ES1Y_Lb0EEENS1_30ComputePtrOffsetOfStridedBatchILi1ELi1ELi1EvEELb1ELb1EEEvPKT0_S3E_T1_PT2_T3_T4_T5_iT6_T7_T8_T9_T10_T11_,@function
_ZN2ck16tensor_operation6device12_GLOBAL__N_137kernel_grouped_conv_fwd_dl_multiple_dINS_32GridwiseGemmDlMultipleD_km_kn_mnILi256EffNS_5TupleIJfEEEfNS0_12element_wise11PassThroughES8_NS7_7AddReluELNS_25InMemoryDataOperationEnumE0ENS_16TensorDescriptorINS5_IJNS_5EmbedINS5_IJiiiiiEEESD_Lb0EEENS_11PassThroughIiEENS_3PadIiiiLb0EEESI_SI_SG_SG_NSC_INS5_IJiiEEESJ_Lb0EEESK_SK_SG_NS_23Merge_v2_magic_divisionINS5_IJiiiiEEEEESN_NS_8RightPadIiiLb0EEESP_NS_7UnMergeISJ_Lb0EEESG_EEENS5_IJNS_8SequenceIJLi0EEEENST_IJLi1EEEENST_IJLi2EEEENST_IJLi3EEEENST_IJLi4EEEENST_IJLi5EEEENST_IJLi6EEEENST_IJLi7EEEENST_IJLi8EEEENST_IJLi9EEEENST_IJLi10EEEENST_IJLi11ELi13ELi15ELi17EEEENST_IJLi12ELi14ELi16ELi18EEEENST_IJLi19EEEENST_IJLi20EEEENST_IJLi22EEEENST_IJLi21EEEEEEENS5_IJNST_IJLi1ELi2ELi3ELi4ELi5EEEES10_S11_S12_S13_S14_NST_IJLi11EEEENST_IJLi12ELi13EEEENST_IJLi14ELi15EEEENST_IJLi16ELi17EEEENST_IJLi18EEEES17_S18_S1A_S19_NST_IJLi23ELi24EEEENST_IJLi25EEEEEEENST_IJLi23ELi25ELi24EEEElEENSB_INS5_IJSR_SP_SP_SR_SG_EEENS5_IJSU_SV_SW_SY_SX_EEENS5_IJNST_IJLi1ELi2EEEESX_SY_NST_IJLi5ELi6EEEES11_EEENST_IJLi5ELi7ELi6EEEElEENSB_INS5_IJSK_SP_SP_EEENS5_IJSU_SV_SW_EEENS5_IJS1P_SX_SY_EEENST_IJLi3ELi4EEEElEELi128ELi128ELi16ELi1ELi4ELi4ELi1ENST_IJLi8ELi2EEEES1Z_NST_IJLi8ELi1ELi1ELi1EEEENST_IJLi2ELi1ELi128ELi1EEEENST_IJLi1ELi2ELi0ELi3EEEES22_NST_IJLi4ELi1ELi1ELi1EEEES22_NST_IJLi1ELi1ELi1ELi1EEEES20_S21_S22_S22_S23_S22_S24_NST_IJLi0ELi1ELi2ELi3ELi4ELi5EEEELi5ELi4EEEfNS5_IJPKfEEEfS8_S8_S9_NSB_INS5_IJSE_SG_SI_SI_SI_SG_SG_SK_SK_SK_SG_SN_SN_SP_SP_SR_SG_SG_NSQ_INS5_IJiNS_17integral_constantIiLi128EEEEEELb0EEENSF_INS2A_IiLi1EEEEEEEENS5_IJSU_SV_SW_SX_SY_SZ_S10_S11_S12_S13_S14_S15_S16_S17_S18_S19_S1A_NST_IJLi23EEEES1J_NST_IJLi24EEEEEEENS5_IJS1C_S10_S11_S12_S13_S14_S1D_S1E_S1F_S1G_S1H_S17_S18_S1A_S19_S1I_S1J_NST_IJLi26EEEENST_IJLi27ELi28EEEENST_IJLi29EEEEEEENST_IJLi26ELi27ELi28ELi29EEEElEENSB_INS5_IJSR_SP_SP_SR_SG_SG_S2D_S2F_EEENS5_IJSU_SV_SW_SY_SX_SZ_S11_S10_EEENS5_IJS1P_SX_SY_S1Q_S11_S12_NST_IJLi9ELi10EEEES1D_EEENST_IJLi8ELi9ELi10ELi11EEEElEENS5_IJNSB_INS5_IJSK_SP_SP_NSQ_INS5_IJiNS2A_IiLi2EEENS2A_IiLi64EEEEEELb0EEES2Z_EEENS5_IJSU_SV_SW_SX_SY_EEENS5_IJS1P_SX_SY_NST_IJLi5ELi6ELi7EEEENST_IJLi8ELi9ELi10EEEEEEENST_IJLi5ELi6ELi7ELi8ELi9ELi10EEEElEEEEES36_NS_31BlockToCTileMap_M00_N00_M01_N01ILi128ELi128ES1Y_Lb0EEENS1_30ComputePtrOffsetOfStridedBatchILi1ELi1ELi1EvEELb1ELb1EEEvPKT0_S3E_T1_PT2_T3_T4_T5_iT6_T7_T8_T9_T10_T11_: ; @_ZN2ck16tensor_operation6device12_GLOBAL__N_137kernel_grouped_conv_fwd_dl_multiple_dINS_32GridwiseGemmDlMultipleD_km_kn_mnILi256EffNS_5TupleIJfEEEfNS0_12element_wise11PassThroughES8_NS7_7AddReluELNS_25InMemoryDataOperationEnumE0ENS_16TensorDescriptorINS5_IJNS_5EmbedINS5_IJiiiiiEEESD_Lb0EEENS_11PassThroughIiEENS_3PadIiiiLb0EEESI_SI_SG_SG_NSC_INS5_IJiiEEESJ_Lb0EEESK_SK_SG_NS_23Merge_v2_magic_divisionINS5_IJiiiiEEEEESN_NS_8RightPadIiiLb0EEESP_NS_7UnMergeISJ_Lb0EEESG_EEENS5_IJNS_8SequenceIJLi0EEEENST_IJLi1EEEENST_IJLi2EEEENST_IJLi3EEEENST_IJLi4EEEENST_IJLi5EEEENST_IJLi6EEEENST_IJLi7EEEENST_IJLi8EEEENST_IJLi9EEEENST_IJLi10EEEENST_IJLi11ELi13ELi15ELi17EEEENST_IJLi12ELi14ELi16ELi18EEEENST_IJLi19EEEENST_IJLi20EEEENST_IJLi22EEEENST_IJLi21EEEEEEENS5_IJNST_IJLi1ELi2ELi3ELi4ELi5EEEES10_S11_S12_S13_S14_NST_IJLi11EEEENST_IJLi12ELi13EEEENST_IJLi14ELi15EEEENST_IJLi16ELi17EEEENST_IJLi18EEEES17_S18_S1A_S19_NST_IJLi23ELi24EEEENST_IJLi25EEEEEEENST_IJLi23ELi25ELi24EEEElEENSB_INS5_IJSR_SP_SP_SR_SG_EEENS5_IJSU_SV_SW_SY_SX_EEENS5_IJNST_IJLi1ELi2EEEESX_SY_NST_IJLi5ELi6EEEES11_EEENST_IJLi5ELi7ELi6EEEElEENSB_INS5_IJSK_SP_SP_EEENS5_IJSU_SV_SW_EEENS5_IJS1P_SX_SY_EEENST_IJLi3ELi4EEEElEELi128ELi128ELi16ELi1ELi4ELi4ELi1ENST_IJLi8ELi2EEEES1Z_NST_IJLi8ELi1ELi1ELi1EEEENST_IJLi2ELi1ELi128ELi1EEEENST_IJLi1ELi2ELi0ELi3EEEES22_NST_IJLi4ELi1ELi1ELi1EEEES22_NST_IJLi1ELi1ELi1ELi1EEEES20_S21_S22_S22_S23_S22_S24_NST_IJLi0ELi1ELi2ELi3ELi4ELi5EEEELi5ELi4EEEfNS5_IJPKfEEEfS8_S8_S9_NSB_INS5_IJSE_SG_SI_SI_SI_SG_SG_SK_SK_SK_SG_SN_SN_SP_SP_SR_SG_SG_NSQ_INS5_IJiNS_17integral_constantIiLi128EEEEEELb0EEENSF_INS2A_IiLi1EEEEEEEENS5_IJSU_SV_SW_SX_SY_SZ_S10_S11_S12_S13_S14_S15_S16_S17_S18_S19_S1A_NST_IJLi23EEEES1J_NST_IJLi24EEEEEEENS5_IJS1C_S10_S11_S12_S13_S14_S1D_S1E_S1F_S1G_S1H_S17_S18_S1A_S19_S1I_S1J_NST_IJLi26EEEENST_IJLi27ELi28EEEENST_IJLi29EEEEEEENST_IJLi26ELi27ELi28ELi29EEEElEENSB_INS5_IJSR_SP_SP_SR_SG_SG_S2D_S2F_EEENS5_IJSU_SV_SW_SY_SX_SZ_S11_S10_EEENS5_IJS1P_SX_SY_S1Q_S11_S12_NST_IJLi9ELi10EEEES1D_EEENST_IJLi8ELi9ELi10ELi11EEEElEENS5_IJNSB_INS5_IJSK_SP_SP_NSQ_INS5_IJiNS2A_IiLi2EEENS2A_IiLi64EEEEEELb0EEES2Z_EEENS5_IJSU_SV_SW_SX_SY_EEENS5_IJS1P_SX_SY_NST_IJLi5ELi6ELi7EEEENST_IJLi8ELi9ELi10EEEEEEENST_IJLi5ELi6ELi7ELi8ELi9ELi10EEEElEEEEES36_NS_31BlockToCTileMap_M00_N00_M01_N01ILi128ELi128ES1Y_Lb0EEENS1_30ComputePtrOffsetOfStridedBatchILi1ELi1ELi1EvEELb1ELb1EEEvPKT0_S3E_T1_PT2_T3_T4_T5_iT6_T7_T8_T9_T10_T11_
; %bb.0:
	s_clause 0x2
	s_load_b256 s[44:51], s[0:1], 0x48
	s_load_b256 s[52:59], s[0:1], 0x28
	;; [unrolled: 1-line block ×3, first 2 shown]
	s_mov_b64 s[2:3], src_private_base
	s_clause 0x8
	s_load_b256 s[4:11], s[0:1], 0x0
	s_load_b256 s[68:75], s[0:1], 0x128
	s_load_b32 s2, s[0:1], 0x24
	s_load_b256 s[76:83], s[0:1], 0x108
	s_load_b256 s[16:23], s[0:1], 0x68
	;; [unrolled: 1-line block ×6, first 2 shown]
	s_mov_b32 s12, s15
	s_movk_i32 s32, 0x2c0
	s_waitcnt lgkmcnt(0)
	s_abs_i32 s13, s2
	v_dual_mov_b32 v1, s48 :: v_dual_mov_b32 v2, s49
	v_dual_mov_b32 v3, s50 :: v_dual_mov_b32 v4, s51
	;; [unrolled: 1-line block ×12, first 2 shown]
	s_clause 0x5
	scratch_store_b128 off, v[1:4], off offset:48
	scratch_store_b128 off, v[5:8], off offset:32
	;; [unrolled: 1-line block ×3, first 2 shown]
	scratch_store_b128 off, v[13:16], off
	scratch_store_b128 off, v[17:20], off offset:304
	scratch_store_b128 off, v[21:24], off offset:288
	v_dual_mov_b32 v1, s72 :: v_dual_mov_b32 v2, s73
	v_dual_mov_b32 v3, s74 :: v_dual_mov_b32 v4, s75
	;; [unrolled: 1-line block ×11, first 2 shown]
	s_load_b256 s[44:51], s[0:1], 0x168
	v_dual_mov_b32 v23, s86 :: v_dual_mov_b32 v24, s87
	s_clause 0x5
	scratch_store_b128 off, v[1:4], off offset:272
	scratch_store_b128 off, v[5:8], off offset:256
	;; [unrolled: 1-line block ×6, first 2 shown]
	v_cvt_f32_u32_e32 v9, s13
	v_dual_mov_b32 v1, s96 :: v_dual_mov_b32 v2, s97
	v_dual_mov_b32 v3, s98 :: v_dual_mov_b32 v4, s99
	;; [unrolled: 1-line block ×4, first 2 shown]
	v_rcp_iflag_f32_e32 v17, v9
	s_clause 0x1
	scratch_store_b128 off, v[1:4], off offset:176
	scratch_store_b128 off, v[5:8], off offset:160
	v_dual_mov_b32 v1, s40 :: v_dual_mov_b32 v2, s41
	v_dual_mov_b32 v9, s28 :: v_dual_mov_b32 v10, s29
	;; [unrolled: 1-line block ×8, first 2 shown]
	s_clause 0x1
	scratch_store_b128 off, v[1:4], off offset:144
	scratch_store_b128 off, v[5:8], off offset:128
	v_dual_mov_b32 v1, s20 :: v_dual_mov_b32 v2, s21
	s_clause 0x1
	scratch_store_b128 off, v[9:12], off offset:112
	scratch_store_b128 off, v[13:16], off offset:96
	v_dual_mov_b32 v3, s22 :: v_dual_mov_b32 v4, s23
	v_dual_mov_b32 v5, s16 :: v_dual_mov_b32 v6, s17
	s_load_b32 s14, s[0:1], 0x300
	v_dual_mov_b32 v7, s18 :: v_dual_mov_b32 v8, s19
	v_mul_f32_e32 v9, 0x4f7ffffe, v17
	s_clause 0x1
	scratch_store_b128 off, v[1:4], off offset:80
	scratch_store_b128 off, v[5:8], off offset:64
	s_waitcnt lgkmcnt(0)
	v_dual_mov_b32 v1, s44 :: v_dual_mov_b32 v4, s47
	v_mov_b32_e32 v2, s45
	v_cvt_u32_f32_e32 v17, v9
	s_load_b256 s[52:59], s[0:1], 0x188
	s_sub_i32 s16, 0, s13
	s_load_b256 s[24:31], s[0:1], 0x1a8
	v_dual_mov_b32 v5, s48 :: v_dual_mov_b32 v8, s51
	v_readfirstlane_b32 s15, v17
	v_dual_mov_b32 v3, s46 :: v_dual_mov_b32 v6, s49
	v_mov_b32_e32 v7, s50
	s_abs_i32 s34, s14
	s_delay_alu instid0(VALU_DEP_3)
	s_mul_i32 s33, s16, s15
	s_xor_b32 s2, s14, s2
	s_mul_hi_u32 s33, s15, s33
	s_load_b256 s[16:23], s[0:1], 0x208
	s_add_i32 s15, s15, s33
	s_ashr_i32 s2, s2, 31
	s_mul_hi_u32 s15, s34, s15
	s_load_b256 s[44:51], s[0:1], 0x1e8
	s_mul_i32 s14, s15, s13
	s_add_i32 s33, s15, 1
	s_sub_i32 s14, s34, s14
	s_load_b256 s[36:43], s[0:1], 0x1c8
	s_sub_i32 s34, s14, s13
	s_cmp_ge_u32 s14, s13
	s_waitcnt lgkmcnt(0)
	v_dual_mov_b32 v9, s52 :: v_dual_mov_b32 v12, s55
	s_cselect_b32 s15, s33, s15
	s_cselect_b32 s14, s34, s14
	s_add_i32 s33, s15, 1
	v_dual_mov_b32 v13, s56 :: v_dual_mov_b32 v16, s59
	s_cmp_ge_u32 s14, s13
	v_dual_mov_b32 v10, s53 :: v_dual_mov_b32 v11, s54
	v_dual_mov_b32 v14, s57 :: v_dual_mov_b32 v15, s58
	s_load_b256 s[52:59], s[0:1], 0x248
	s_cselect_b32 s13, s33, s15
	s_clause 0x1
	scratch_store_b128 off, v[1:4], off offset:320
	scratch_store_b128 off, v[5:8], off offset:336
	s_xor_b32 s13, s13, s2
	v_dual_mov_b32 v1, s24 :: v_dual_mov_b32 v4, s27
	s_sub_i32 s2, s13, s2
	v_mov_b32_e32 v2, s25
	s_abs_i32 s13, s2
	s_clause 0x1
	scratch_store_b128 off, v[9:12], off offset:352
	scratch_store_b128 off, v[13:16], off offset:368
	v_cvt_f32_u32_e32 v13, s13
	v_mov_b32_e32 v3, s26
	v_dual_mov_b32 v5, s28 :: v_dual_mov_b32 v8, s31
	v_dual_mov_b32 v9, s16 :: v_dual_mov_b32 v12, s19
	;; [unrolled: 1-line block ×4, first 2 shown]
	v_rcp_iflag_f32_e32 v21, v13
	s_clause 0x1
	scratch_store_b128 off, v[1:4], off offset:384
	scratch_store_b128 off, v[5:8], off offset:400
	v_dual_mov_b32 v1, s48 :: v_dual_mov_b32 v4, s51
	v_mov_b32_e32 v2, s49
	scratch_store_b128 off, v[9:12], off offset:480
	v_mov_b32_e32 v3, s50
	v_dual_mov_b32 v5, s44 :: v_dual_mov_b32 v8, s47
	v_dual_mov_b32 v9, s40 :: v_dual_mov_b32 v12, s43
	;; [unrolled: 1-line block ×6, first 2 shown]
	s_waitcnt lgkmcnt(0)
	v_dual_mov_b32 v17, s56 :: v_dual_mov_b32 v20, s59
	s_load_b256 s[24:31], s[0:1], 0x228
	v_dual_mov_b32 v18, s57 :: v_dual_mov_b32 v19, s58
	s_clause 0x1
	scratch_store_b128 off, v[1:4], off offset:464
	scratch_store_b128 off, v[5:8], off offset:448
	v_dual_mov_b32 v1, s52 :: v_dual_mov_b32 v2, s53
	s_clause 0x2
	scratch_store_b128 off, v[9:12], off offset:432
	scratch_store_b128 off, v[13:16], off offset:416
	;; [unrolled: 1-line block ×3, first 2 shown]
	v_dual_mul_f32 v17, 0x4f7ffffe, v21 :: v_dual_mov_b32 v4, s55
	s_load_b128 s[16:19], s[0:1], 0x2c8
	s_sub_i32 s15, 0, s13
	v_mov_b32_e32 v3, s54
	s_delay_alu instid0(VALU_DEP_2) | instskip(SKIP_3) | instid1(VALU_DEP_3)
	v_cvt_u32_f32_e32 v17, v17
	v_mov_b32_e32 v13, s20
	s_abs_i32 s33, s12
	v_dual_mov_b32 v14, s21 :: v_dual_mov_b32 v15, s22
	v_readfirstlane_b32 s14, v17
	v_mov_b32_e32 v16, s23
	s_load_b256 s[36:43], s[0:1], 0x2a8
	s_waitcnt lgkmcnt(0)
	v_dual_mov_b32 v5, s28 :: v_dual_mov_b32 v6, s29
	s_mul_i32 s15, s15, s14
	v_mov_b32_e32 v7, s30
	s_mul_hi_u32 s15, s14, s15
	v_dual_mov_b32 v8, s31 :: v_dual_mov_b32 v9, s24
	v_dual_mov_b32 v10, s25 :: v_dual_mov_b32 v11, s26
	v_mov_b32_e32 v12, s27
	s_add_i32 s14, s14, s15
	s_clause 0x3
	scratch_store_b128 off, v[1:4], off offset:544
	scratch_store_b128 off, v[5:8], off offset:528
	;; [unrolled: 1-line block ×4, first 2 shown]
	s_mul_hi_u32 s14, s33, s14
	v_dual_mov_b32 v1, s16 :: v_dual_mov_b32 v2, s17
	v_dual_mov_b32 v3, s18 :: v_dual_mov_b32 v4, s19
	s_clause 0x2
	s_load_b256 s[24:31], s[0:1], 0x268
	s_load_b256 s[44:51], s[0:1], 0x288
	;; [unrolled: 1-line block ×3, first 2 shown]
	s_mul_i32 s15, s14, s13
	s_xor_b32 s2, s12, s2
	s_sub_i32 s15, s33, s15
	s_ashr_i32 s2, s2, 31
	s_add_i32 s33, s14, 1
	s_sub_i32 s34, s15, s13
	s_cmp_ge_u32 s15, s13
	scratch_store_b128 off, v[1:4], off offset:672
	s_cselect_b32 s14, s33, s14
	s_cselect_b32 s15, s34, s15
	s_add_i32 s33, s14, 1
	s_cmp_ge_u32 s15, s13
	s_mov_b32 s15, 0
	s_cselect_b32 s13, s33, s14
	v_mov_b32_e32 v1, s40
	s_xor_b32 s13, s13, s2
	v_mov_b32_e32 v2, s41
	s_sub_i32 s2, s13, s2
	s_waitcnt lgkmcnt(0)
	v_mov_b32_e32 v9, s28
	s_ashr_i32 s13, s2, 31
	v_mov_b32_e32 v13, s24
	v_dual_mov_b32 v11, s30 :: v_dual_mov_b32 v16, s27
	v_dual_mov_b32 v14, s25 :: v_dual_mov_b32 v15, s26
	s_mul_i32 s14, s16, s13
	s_mul_hi_u32 s24, s16, s2
	s_mul_i32 s17, s17, s2
	s_add_i32 s14, s24, s14
	s_mul_i32 s24, s18, s13
	s_mul_hi_u32 s25, s18, s2
	s_add_i32 s26, s14, s17
	s_add_i32 s17, s25, s24
	s_mul_i32 s19, s19, s2
	s_mul_i32 s14, s16, s2
	s_add_i32 s24, s17, s19
	s_mul_i32 s16, s22, s13
	s_mul_i32 s13, s20, s13
	s_mul_hi_u32 s17, s20, s2
	s_mul_hi_u32 s19, s22, s2
	s_add_i32 s13, s17, s13
	s_mul_i32 s17, s21, s2
	s_add_i32 s19, s19, s16
	s_add_i32 s17, s13, s17
	s_mul_i32 s16, s20, s2
	s_mul_i32 s13, s23, s2
	s_lshl_b64 s[16:17], s[16:17], 2
	s_add_i32 s13, s19, s13
	s_add_u32 s20, s8, s16
	s_addc_u32 s21, s9, s17
	s_lshl_b32 s9, s26, 2
	s_mov_b32 s8, s15
	s_lshl_b64 s[16:17], s[14:15], 2
	s_mul_i32 s18, s18, s2
	s_or_b64 s[8:9], s[8:9], s[16:17]
	s_mov_b32 s19, s15
	s_add_u32 s14, s4, s8
	s_addc_u32 s23, s5, s9
	s_lshl_b32 s5, s24, 2
	s_mov_b32 s4, s15
	s_lshl_b64 s[8:9], s[18:19], 2
	v_dual_mov_b32 v3, s42 :: v_dual_mov_b32 v4, s43
	v_dual_mov_b32 v5, s36 :: v_dual_mov_b32 v6, s37
	v_dual_mov_b32 v7, s38 :: v_dual_mov_b32 v8, s39
	s_or_b64 s[4:5], s[4:5], s[8:9]
	s_mul_i32 s16, s22, s2
	s_mov_b32 s17, s15
	s_add_u32 s2, s6, s4
	s_addc_u32 s18, s7, s5
	s_lshl_b32 s5, s13, 2
	s_mov_b32 s4, s15
	s_lshl_b64 s[6:7], s[16:17], 2
	s_clause 0x1
	scratch_store_b128 off, v[1:4], off offset:656
	scratch_store_b128 off, v[5:8], off offset:640
	v_mov_b32_e32 v1, s48
	v_dual_mov_b32 v5, s44 :: v_dual_mov_b32 v10, s29
	v_dual_mov_b32 v2, s49 :: v_dual_mov_b32 v3, s50
	v_mov_b32_e32 v8, s47
	v_dual_mov_b32 v4, s51 :: v_dual_mov_b32 v7, s46
	v_mov_b32_e32 v12, s31
	s_or_b64 s[4:5], s[4:5], s[6:7]
	v_mov_b32_e32 v6, s45
	s_add_u32 s4, s10, s4
	s_addc_u32 s5, s11, s5
	s_clause 0x1
	scratch_store_b128 off, v[1:4], off offset:624
	scratch_store_b128 off, v[5:8], off offset:608
	v_dual_mov_b32 v31, v0 :: v_dual_mov_b32 v4, s20
	v_dual_mov_b32 v0, s14 :: v_dual_mov_b32 v1, s23
	v_mov_b32_e32 v6, s4
	v_mov_b32_e32 v2, s2
	s_clause 0x1
	scratch_store_b128 off, v[9:12], off offset:592
	scratch_store_b128 off, v[13:16], off offset:576
	v_dual_mov_b32 v3, s18 :: v_dual_mov_b32 v8, 0
	v_dual_mov_b32 v5, s21 :: v_dual_mov_b32 v10, 0x140
	;; [unrolled: 1-line block ×5, first 2 shown]
	v_mov_b32_e32 v13, s3
	v_mov_b32_e32 v15, s3
	;; [unrolled: 1-line block ×3, first 2 shown]
	s_add_u32 s8, s0, 0x300
	s_addc_u32 s9, s1, 0
	s_getpc_b64 s[0:1]
	s_add_u32 s0, s0, _ZN2ck32GridwiseGemmDlMultipleD_km_kn_mnILi256EffNS_5TupleIJfEEEfNS_16tensor_operation12element_wise11PassThroughES5_NS4_7AddReluELNS_25InMemoryDataOperationEnumE0ENS_16TensorDescriptorINS1_IJNS_5EmbedINS1_IJiiiiiEEESA_Lb0EEENS_11PassThroughIiEENS_3PadIiiiLb0EEESF_SF_SD_SD_NS9_INS1_IJiiEEESG_Lb0EEESH_SH_SD_NS_23Merge_v2_magic_divisionINS1_IJiiiiEEEEESK_NS_8RightPadIiiLb0EEESM_NS_7UnMergeISG_Lb0EEESD_EEENS1_IJNS_8SequenceIJLi0EEEENSQ_IJLi1EEEENSQ_IJLi2EEEENSQ_IJLi3EEEENSQ_IJLi4EEEENSQ_IJLi5EEEENSQ_IJLi6EEEENSQ_IJLi7EEEENSQ_IJLi8EEEENSQ_IJLi9EEEENSQ_IJLi10EEEENSQ_IJLi11ELi13ELi15ELi17EEEENSQ_IJLi12ELi14ELi16ELi18EEEENSQ_IJLi19EEEENSQ_IJLi20EEEENSQ_IJLi22EEEENSQ_IJLi21EEEEEEENS1_IJNSQ_IJLi1ELi2ELi3ELi4ELi5EEEESX_SY_SZ_S10_S11_NSQ_IJLi11EEEENSQ_IJLi12ELi13EEEENSQ_IJLi14ELi15EEEENSQ_IJLi16ELi17EEEENSQ_IJLi18EEEES14_S15_S17_S16_NSQ_IJLi23ELi24EEEENSQ_IJLi25EEEEEEENSQ_IJLi23ELi25ELi24EEEElEENS8_INS1_IJSO_SM_SM_SO_SD_EEENS1_IJSR_SS_ST_SV_SU_EEENS1_IJNSQ_IJLi1ELi2EEEESU_SV_NSQ_IJLi5ELi6EEEESY_EEENSQ_IJLi5ELi7ELi6EEEElEENS8_INS1_IJSH_SM_SM_EEENS1_IJSR_SS_ST_EEENS1_IJS1M_SU_SV_EEENSQ_IJLi3ELi4EEEElEELi128ELi128ELi16ELi1ELi4ELi4ELi1ENSQ_IJLi8ELi2EEEES1W_NSQ_IJLi8ELi1ELi1ELi1EEEENSQ_IJLi2ELi1ELi128ELi1EEEENSQ_IJLi1ELi2ELi0ELi3EEEES1Z_NSQ_IJLi4ELi1ELi1ELi1EEEES1Z_NSQ_IJLi1ELi1ELi1ELi1EEEES1X_S1Y_S1Z_S1Z_S20_S1Z_S21_NSQ_IJLi0ELi1ELi2ELi3ELi4ELi5EEEELi5ELi4EE3RunINS1_IJNS8_INS1_IJSH_SM_SM_NSN_INS1_IJiNS_17integral_constantIiLi2EEENS25_IiLi64EEEEEELb0EEES29_EEENS1_IJSR_SS_ST_SU_SV_EEENS1_IJS1M_SU_SV_NSQ_IJLi5ELi6ELi7EEEENSQ_IJLi8ELi9ELi10EEEEEEENSQ_IJLi5ELi6ELi7ELi8ELi9ELi10EEEElEEEEELb1ELb1ENS_31BlockToCTileMap_M00_N00_M01_N01ILi128ELi128ES1V_Lb0EEEEEvPKfS2L_NS1_IJS2L_EEEPfPvRKS5_S2Q_RKS6_RKNS8_INS1_IJSB_SD_SF_SF_SF_SD_SD_SH_SH_SH_SD_SK_SK_SM_SM_SO_SD_SD_NSN_INS1_IJiNS25_IiLi128EEEEEELb0EEENSC_INS25_IiLi1EEEEEEEENS1_IJSR_SS_ST_SU_SV_SW_SX_SY_SZ_S10_S11_S12_S13_S14_S15_S16_S17_NSQ_IJLi23EEEES1G_NSQ_IJLi24EEEEEEENS1_IJS19_SX_SY_SZ_S10_S11_S1A_S1B_S1C_S1D_S1E_S14_S15_S17_S16_S1F_S1G_NSQ_IJLi26EEEENSQ_IJLi27ELi28EEEENSQ_IJLi29EEEEEEENSQ_IJLi26ELi27ELi28ELi29EEEElEERKNS8_INS1_IJSO_SM_SM_SO_SD_SD_S2V_S2X_EEENS1_IJSR_SS_ST_SV_SU_SW_SY_SX_EEENS1_IJS1M_SU_SV_S1N_SY_SZ_NSQ_IJLi9ELi10EEEES1A_EEENSQ_IJLi8ELi9ELi10ELi11EEEElEERKT_RKS2G_RKT2_NS25_IbXT0_EEENS25_IbXT1_EEE@rel32@lo+4
	s_addc_u32 s1, s1, _ZN2ck32GridwiseGemmDlMultipleD_km_kn_mnILi256EffNS_5TupleIJfEEEfNS_16tensor_operation12element_wise11PassThroughES5_NS4_7AddReluELNS_25InMemoryDataOperationEnumE0ENS_16TensorDescriptorINS1_IJNS_5EmbedINS1_IJiiiiiEEESA_Lb0EEENS_11PassThroughIiEENS_3PadIiiiLb0EEESF_SF_SD_SD_NS9_INS1_IJiiEEESG_Lb0EEESH_SH_SD_NS_23Merge_v2_magic_divisionINS1_IJiiiiEEEEESK_NS_8RightPadIiiLb0EEESM_NS_7UnMergeISG_Lb0EEESD_EEENS1_IJNS_8SequenceIJLi0EEEENSQ_IJLi1EEEENSQ_IJLi2EEEENSQ_IJLi3EEEENSQ_IJLi4EEEENSQ_IJLi5EEEENSQ_IJLi6EEEENSQ_IJLi7EEEENSQ_IJLi8EEEENSQ_IJLi9EEEENSQ_IJLi10EEEENSQ_IJLi11ELi13ELi15ELi17EEEENSQ_IJLi12ELi14ELi16ELi18EEEENSQ_IJLi19EEEENSQ_IJLi20EEEENSQ_IJLi22EEEENSQ_IJLi21EEEEEEENS1_IJNSQ_IJLi1ELi2ELi3ELi4ELi5EEEESX_SY_SZ_S10_S11_NSQ_IJLi11EEEENSQ_IJLi12ELi13EEEENSQ_IJLi14ELi15EEEENSQ_IJLi16ELi17EEEENSQ_IJLi18EEEES14_S15_S17_S16_NSQ_IJLi23ELi24EEEENSQ_IJLi25EEEEEEENSQ_IJLi23ELi25ELi24EEEElEENS8_INS1_IJSO_SM_SM_SO_SD_EEENS1_IJSR_SS_ST_SV_SU_EEENS1_IJNSQ_IJLi1ELi2EEEESU_SV_NSQ_IJLi5ELi6EEEESY_EEENSQ_IJLi5ELi7ELi6EEEElEENS8_INS1_IJSH_SM_SM_EEENS1_IJSR_SS_ST_EEENS1_IJS1M_SU_SV_EEENSQ_IJLi3ELi4EEEElEELi128ELi128ELi16ELi1ELi4ELi4ELi1ENSQ_IJLi8ELi2EEEES1W_NSQ_IJLi8ELi1ELi1ELi1EEEENSQ_IJLi2ELi1ELi128ELi1EEEENSQ_IJLi1ELi2ELi0ELi3EEEES1Z_NSQ_IJLi4ELi1ELi1ELi1EEEES1Z_NSQ_IJLi1ELi1ELi1ELi1EEEES1X_S1Y_S1Z_S1Z_S20_S1Z_S21_NSQ_IJLi0ELi1ELi2ELi3ELi4ELi5EEEELi5ELi4EE3RunINS1_IJNS8_INS1_IJSH_SM_SM_NSN_INS1_IJiNS_17integral_constantIiLi2EEENS25_IiLi64EEEEEELb0EEES29_EEENS1_IJSR_SS_ST_SU_SV_EEENS1_IJS1M_SU_SV_NSQ_IJLi5ELi6ELi7EEEENSQ_IJLi8ELi9ELi10EEEEEEENSQ_IJLi5ELi6ELi7ELi8ELi9ELi10EEEElEEEEELb1ELb1ENS_31BlockToCTileMap_M00_N00_M01_N01ILi128ELi128ES1V_Lb0EEEEEvPKfS2L_NS1_IJS2L_EEEPfPvRKS5_S2Q_RKS6_RKNS8_INS1_IJSB_SD_SF_SF_SF_SD_SD_SH_SH_SH_SD_SK_SK_SM_SM_SO_SD_SD_NSN_INS1_IJiNS25_IiLi128EEEEEELb0EEENSC_INS25_IiLi1EEEEEEEENS1_IJSR_SS_ST_SU_SV_SW_SX_SY_SZ_S10_S11_S12_S13_S14_S15_S16_S17_NSQ_IJLi23EEEES1G_NSQ_IJLi24EEEEEEENS1_IJS19_SX_SY_SZ_S10_S11_S1A_S1B_S1C_S1D_S1E_S14_S15_S17_S16_S1F_S1G_NSQ_IJLi26EEEENSQ_IJLi27ELi28EEEENSQ_IJLi29EEEEEEENSQ_IJLi26ELi27ELi28ELi29EEEElEERKNS8_INS1_IJSO_SM_SM_SO_SD_SD_S2V_S2X_EEENS1_IJSR_SS_ST_SV_SU_SW_SY_SX_EEENS1_IJS1M_SU_SV_S1N_SY_SZ_NSQ_IJLi9ELi10EEEES1A_EEENSQ_IJLi8ELi9ELi10ELi11EEEElEERKT_RKS2G_RKT2_NS25_IbXT0_EEENS25_IbXT1_EEE@rel32@hi+12
	s_delay_alu instid0(SALU_CYCLE_1)
	s_swappc_b64 s[30:31], s[0:1]
	s_endpgm
	.section	.rodata,"a",@progbits
	.p2align	6, 0x0
	.amdhsa_kernel _ZN2ck16tensor_operation6device12_GLOBAL__N_137kernel_grouped_conv_fwd_dl_multiple_dINS_32GridwiseGemmDlMultipleD_km_kn_mnILi256EffNS_5TupleIJfEEEfNS0_12element_wise11PassThroughES8_NS7_7AddReluELNS_25InMemoryDataOperationEnumE0ENS_16TensorDescriptorINS5_IJNS_5EmbedINS5_IJiiiiiEEESD_Lb0EEENS_11PassThroughIiEENS_3PadIiiiLb0EEESI_SI_SG_SG_NSC_INS5_IJiiEEESJ_Lb0EEESK_SK_SG_NS_23Merge_v2_magic_divisionINS5_IJiiiiEEEEESN_NS_8RightPadIiiLb0EEESP_NS_7UnMergeISJ_Lb0EEESG_EEENS5_IJNS_8SequenceIJLi0EEEENST_IJLi1EEEENST_IJLi2EEEENST_IJLi3EEEENST_IJLi4EEEENST_IJLi5EEEENST_IJLi6EEEENST_IJLi7EEEENST_IJLi8EEEENST_IJLi9EEEENST_IJLi10EEEENST_IJLi11ELi13ELi15ELi17EEEENST_IJLi12ELi14ELi16ELi18EEEENST_IJLi19EEEENST_IJLi20EEEENST_IJLi22EEEENST_IJLi21EEEEEEENS5_IJNST_IJLi1ELi2ELi3ELi4ELi5EEEES10_S11_S12_S13_S14_NST_IJLi11EEEENST_IJLi12ELi13EEEENST_IJLi14ELi15EEEENST_IJLi16ELi17EEEENST_IJLi18EEEES17_S18_S1A_S19_NST_IJLi23ELi24EEEENST_IJLi25EEEEEEENST_IJLi23ELi25ELi24EEEElEENSB_INS5_IJSR_SP_SP_SR_SG_EEENS5_IJSU_SV_SW_SY_SX_EEENS5_IJNST_IJLi1ELi2EEEESX_SY_NST_IJLi5ELi6EEEES11_EEENST_IJLi5ELi7ELi6EEEElEENSB_INS5_IJSK_SP_SP_EEENS5_IJSU_SV_SW_EEENS5_IJS1P_SX_SY_EEENST_IJLi3ELi4EEEElEELi128ELi128ELi16ELi1ELi4ELi4ELi1ENST_IJLi8ELi2EEEES1Z_NST_IJLi8ELi1ELi1ELi1EEEENST_IJLi2ELi1ELi128ELi1EEEENST_IJLi1ELi2ELi0ELi3EEEES22_NST_IJLi4ELi1ELi1ELi1EEEES22_NST_IJLi1ELi1ELi1ELi1EEEES20_S21_S22_S22_S23_S22_S24_NST_IJLi0ELi1ELi2ELi3ELi4ELi5EEEELi5ELi4EEEfNS5_IJPKfEEEfS8_S8_S9_NSB_INS5_IJSE_SG_SI_SI_SI_SG_SG_SK_SK_SK_SG_SN_SN_SP_SP_SR_SG_SG_NSQ_INS5_IJiNS_17integral_constantIiLi128EEEEEELb0EEENSF_INS2A_IiLi1EEEEEEEENS5_IJSU_SV_SW_SX_SY_SZ_S10_S11_S12_S13_S14_S15_S16_S17_S18_S19_S1A_NST_IJLi23EEEES1J_NST_IJLi24EEEEEEENS5_IJS1C_S10_S11_S12_S13_S14_S1D_S1E_S1F_S1G_S1H_S17_S18_S1A_S19_S1I_S1J_NST_IJLi26EEEENST_IJLi27ELi28EEEENST_IJLi29EEEEEEENST_IJLi26ELi27ELi28ELi29EEEElEENSB_INS5_IJSR_SP_SP_SR_SG_SG_S2D_S2F_EEENS5_IJSU_SV_SW_SY_SX_SZ_S11_S10_EEENS5_IJS1P_SX_SY_S1Q_S11_S12_NST_IJLi9ELi10EEEES1D_EEENST_IJLi8ELi9ELi10ELi11EEEElEENS5_IJNSB_INS5_IJSK_SP_SP_NSQ_INS5_IJiNS2A_IiLi2EEENS2A_IiLi64EEEEEELb0EEES2Z_EEENS5_IJSU_SV_SW_SX_SY_EEENS5_IJS1P_SX_SY_NST_IJLi5ELi6ELi7EEEENST_IJLi8ELi9ELi10EEEEEEENST_IJLi5ELi6ELi7ELi8ELi9ELi10EEEElEEEEES36_NS_31BlockToCTileMap_M00_N00_M01_N01ILi128ELi128ES1Y_Lb0EEENS1_30ComputePtrOffsetOfStridedBatchILi1ELi1ELi1EvEELb1ELb1EEEvPKT0_S3E_T1_PT2_T3_T4_T5_iT6_T7_T8_T9_T10_T11_
		.amdhsa_group_segment_fixed_size 32768
		.amdhsa_private_segment_fixed_size 704
		.amdhsa_kernarg_size 1024
		.amdhsa_user_sgpr_count 15
		.amdhsa_user_sgpr_dispatch_ptr 0
		.amdhsa_user_sgpr_queue_ptr 0
		.amdhsa_user_sgpr_kernarg_segment_ptr 1
		.amdhsa_user_sgpr_dispatch_id 0
		.amdhsa_user_sgpr_private_segment_size 0
		.amdhsa_wavefront_size32 1
		.amdhsa_uses_dynamic_stack 0
		.amdhsa_enable_private_segment 1
		.amdhsa_system_sgpr_workgroup_id_x 1
		.amdhsa_system_sgpr_workgroup_id_y 0
		.amdhsa_system_sgpr_workgroup_id_z 0
		.amdhsa_system_sgpr_workgroup_info 0
		.amdhsa_system_vgpr_workitem_id 0
		.amdhsa_next_free_vgpr 246
		.amdhsa_next_free_sgpr 100
		.amdhsa_reserve_vcc 1
		.amdhsa_float_round_mode_32 0
		.amdhsa_float_round_mode_16_64 0
		.amdhsa_float_denorm_mode_32 3
		.amdhsa_float_denorm_mode_16_64 3
		.amdhsa_dx10_clamp 1
		.amdhsa_ieee_mode 1
		.amdhsa_fp16_overflow 0
		.amdhsa_workgroup_processor_mode 1
		.amdhsa_memory_ordered 1
		.amdhsa_forward_progress 0
		.amdhsa_shared_vgpr_count 0
		.amdhsa_exception_fp_ieee_invalid_op 0
		.amdhsa_exception_fp_denorm_src 0
		.amdhsa_exception_fp_ieee_div_zero 0
		.amdhsa_exception_fp_ieee_overflow 0
		.amdhsa_exception_fp_ieee_underflow 0
		.amdhsa_exception_fp_ieee_inexact 0
		.amdhsa_exception_int_div_zero 0
	.end_amdhsa_kernel
	.section	.text._ZN2ck16tensor_operation6device12_GLOBAL__N_137kernel_grouped_conv_fwd_dl_multiple_dINS_32GridwiseGemmDlMultipleD_km_kn_mnILi256EffNS_5TupleIJfEEEfNS0_12element_wise11PassThroughES8_NS7_7AddReluELNS_25InMemoryDataOperationEnumE0ENS_16TensorDescriptorINS5_IJNS_5EmbedINS5_IJiiiiiEEESD_Lb0EEENS_11PassThroughIiEENS_3PadIiiiLb0EEESI_SI_SG_SG_NSC_INS5_IJiiEEESJ_Lb0EEESK_SK_SG_NS_23Merge_v2_magic_divisionINS5_IJiiiiEEEEESN_NS_8RightPadIiiLb0EEESP_NS_7UnMergeISJ_Lb0EEESG_EEENS5_IJNS_8SequenceIJLi0EEEENST_IJLi1EEEENST_IJLi2EEEENST_IJLi3EEEENST_IJLi4EEEENST_IJLi5EEEENST_IJLi6EEEENST_IJLi7EEEENST_IJLi8EEEENST_IJLi9EEEENST_IJLi10EEEENST_IJLi11ELi13ELi15ELi17EEEENST_IJLi12ELi14ELi16ELi18EEEENST_IJLi19EEEENST_IJLi20EEEENST_IJLi22EEEENST_IJLi21EEEEEEENS5_IJNST_IJLi1ELi2ELi3ELi4ELi5EEEES10_S11_S12_S13_S14_NST_IJLi11EEEENST_IJLi12ELi13EEEENST_IJLi14ELi15EEEENST_IJLi16ELi17EEEENST_IJLi18EEEES17_S18_S1A_S19_NST_IJLi23ELi24EEEENST_IJLi25EEEEEEENST_IJLi23ELi25ELi24EEEElEENSB_INS5_IJSR_SP_SP_SR_SG_EEENS5_IJSU_SV_SW_SY_SX_EEENS5_IJNST_IJLi1ELi2EEEESX_SY_NST_IJLi5ELi6EEEES11_EEENST_IJLi5ELi7ELi6EEEElEENSB_INS5_IJSK_SP_SP_EEENS5_IJSU_SV_SW_EEENS5_IJS1P_SX_SY_EEENST_IJLi3ELi4EEEElEELi128ELi128ELi16ELi1ELi4ELi4ELi1ENST_IJLi8ELi2EEEES1Z_NST_IJLi8ELi1ELi1ELi1EEEENST_IJLi2ELi1ELi128ELi1EEEENST_IJLi1ELi2ELi0ELi3EEEES22_NST_IJLi4ELi1ELi1ELi1EEEES22_NST_IJLi1ELi1ELi1ELi1EEEES20_S21_S22_S22_S23_S22_S24_NST_IJLi0ELi1ELi2ELi3ELi4ELi5EEEELi5ELi4EEEfNS5_IJPKfEEEfS8_S8_S9_NSB_INS5_IJSE_SG_SI_SI_SI_SG_SG_SK_SK_SK_SG_SN_SN_SP_SP_SR_SG_SG_NSQ_INS5_IJiNS_17integral_constantIiLi128EEEEEELb0EEENSF_INS2A_IiLi1EEEEEEEENS5_IJSU_SV_SW_SX_SY_SZ_S10_S11_S12_S13_S14_S15_S16_S17_S18_S19_S1A_NST_IJLi23EEEES1J_NST_IJLi24EEEEEEENS5_IJS1C_S10_S11_S12_S13_S14_S1D_S1E_S1F_S1G_S1H_S17_S18_S1A_S19_S1I_S1J_NST_IJLi26EEEENST_IJLi27ELi28EEEENST_IJLi29EEEEEEENST_IJLi26ELi27ELi28ELi29EEEElEENSB_INS5_IJSR_SP_SP_SR_SG_SG_S2D_S2F_EEENS5_IJSU_SV_SW_SY_SX_SZ_S11_S10_EEENS5_IJS1P_SX_SY_S1Q_S11_S12_NST_IJLi9ELi10EEEES1D_EEENST_IJLi8ELi9ELi10ELi11EEEElEENS5_IJNSB_INS5_IJSK_SP_SP_NSQ_INS5_IJiNS2A_IiLi2EEENS2A_IiLi64EEEEEELb0EEES2Z_EEENS5_IJSU_SV_SW_SX_SY_EEENS5_IJS1P_SX_SY_NST_IJLi5ELi6ELi7EEEENST_IJLi8ELi9ELi10EEEEEEENST_IJLi5ELi6ELi7ELi8ELi9ELi10EEEElEEEEES36_NS_31BlockToCTileMap_M00_N00_M01_N01ILi128ELi128ES1Y_Lb0EEENS1_30ComputePtrOffsetOfStridedBatchILi1ELi1ELi1EvEELb1ELb1EEEvPKT0_S3E_T1_PT2_T3_T4_T5_iT6_T7_T8_T9_T10_T11_,"axG",@progbits,_ZN2ck16tensor_operation6device12_GLOBAL__N_137kernel_grouped_conv_fwd_dl_multiple_dINS_32GridwiseGemmDlMultipleD_km_kn_mnILi256EffNS_5TupleIJfEEEfNS0_12element_wise11PassThroughES8_NS7_7AddReluELNS_25InMemoryDataOperationEnumE0ENS_16TensorDescriptorINS5_IJNS_5EmbedINS5_IJiiiiiEEESD_Lb0EEENS_11PassThroughIiEENS_3PadIiiiLb0EEESI_SI_SG_SG_NSC_INS5_IJiiEEESJ_Lb0EEESK_SK_SG_NS_23Merge_v2_magic_divisionINS5_IJiiiiEEEEESN_NS_8RightPadIiiLb0EEESP_NS_7UnMergeISJ_Lb0EEESG_EEENS5_IJNS_8SequenceIJLi0EEEENST_IJLi1EEEENST_IJLi2EEEENST_IJLi3EEEENST_IJLi4EEEENST_IJLi5EEEENST_IJLi6EEEENST_IJLi7EEEENST_IJLi8EEEENST_IJLi9EEEENST_IJLi10EEEENST_IJLi11ELi13ELi15ELi17EEEENST_IJLi12ELi14ELi16ELi18EEEENST_IJLi19EEEENST_IJLi20EEEENST_IJLi22EEEENST_IJLi21EEEEEEENS5_IJNST_IJLi1ELi2ELi3ELi4ELi5EEEES10_S11_S12_S13_S14_NST_IJLi11EEEENST_IJLi12ELi13EEEENST_IJLi14ELi15EEEENST_IJLi16ELi17EEEENST_IJLi18EEEES17_S18_S1A_S19_NST_IJLi23ELi24EEEENST_IJLi25EEEEEEENST_IJLi23ELi25ELi24EEEElEENSB_INS5_IJSR_SP_SP_SR_SG_EEENS5_IJSU_SV_SW_SY_SX_EEENS5_IJNST_IJLi1ELi2EEEESX_SY_NST_IJLi5ELi6EEEES11_EEENST_IJLi5ELi7ELi6EEEElEENSB_INS5_IJSK_SP_SP_EEENS5_IJSU_SV_SW_EEENS5_IJS1P_SX_SY_EEENST_IJLi3ELi4EEEElEELi128ELi128ELi16ELi1ELi4ELi4ELi1ENST_IJLi8ELi2EEEES1Z_NST_IJLi8ELi1ELi1ELi1EEEENST_IJLi2ELi1ELi128ELi1EEEENST_IJLi1ELi2ELi0ELi3EEEES22_NST_IJLi4ELi1ELi1ELi1EEEES22_NST_IJLi1ELi1ELi1ELi1EEEES20_S21_S22_S22_S23_S22_S24_NST_IJLi0ELi1ELi2ELi3ELi4ELi5EEEELi5ELi4EEEfNS5_IJPKfEEEfS8_S8_S9_NSB_INS5_IJSE_SG_SI_SI_SI_SG_SG_SK_SK_SK_SG_SN_SN_SP_SP_SR_SG_SG_NSQ_INS5_IJiNS_17integral_constantIiLi128EEEEEELb0EEENSF_INS2A_IiLi1EEEEEEEENS5_IJSU_SV_SW_SX_SY_SZ_S10_S11_S12_S13_S14_S15_S16_S17_S18_S19_S1A_NST_IJLi23EEEES1J_NST_IJLi24EEEEEEENS5_IJS1C_S10_S11_S12_S13_S14_S1D_S1E_S1F_S1G_S1H_S17_S18_S1A_S19_S1I_S1J_NST_IJLi26EEEENST_IJLi27ELi28EEEENST_IJLi29EEEEEEENST_IJLi26ELi27ELi28ELi29EEEElEENSB_INS5_IJSR_SP_SP_SR_SG_SG_S2D_S2F_EEENS5_IJSU_SV_SW_SY_SX_SZ_S11_S10_EEENS5_IJS1P_SX_SY_S1Q_S11_S12_NST_IJLi9ELi10EEEES1D_EEENST_IJLi8ELi9ELi10ELi11EEEElEENS5_IJNSB_INS5_IJSK_SP_SP_NSQ_INS5_IJiNS2A_IiLi2EEENS2A_IiLi64EEEEEELb0EEES2Z_EEENS5_IJSU_SV_SW_SX_SY_EEENS5_IJS1P_SX_SY_NST_IJLi5ELi6ELi7EEEENST_IJLi8ELi9ELi10EEEEEEENST_IJLi5ELi6ELi7ELi8ELi9ELi10EEEElEEEEES36_NS_31BlockToCTileMap_M00_N00_M01_N01ILi128ELi128ES1Y_Lb0EEENS1_30ComputePtrOffsetOfStridedBatchILi1ELi1ELi1EvEELb1ELb1EEEvPKT0_S3E_T1_PT2_T3_T4_T5_iT6_T7_T8_T9_T10_T11_,comdat
.Lfunc_end14:
	.size	_ZN2ck16tensor_operation6device12_GLOBAL__N_137kernel_grouped_conv_fwd_dl_multiple_dINS_32GridwiseGemmDlMultipleD_km_kn_mnILi256EffNS_5TupleIJfEEEfNS0_12element_wise11PassThroughES8_NS7_7AddReluELNS_25InMemoryDataOperationEnumE0ENS_16TensorDescriptorINS5_IJNS_5EmbedINS5_IJiiiiiEEESD_Lb0EEENS_11PassThroughIiEENS_3PadIiiiLb0EEESI_SI_SG_SG_NSC_INS5_IJiiEEESJ_Lb0EEESK_SK_SG_NS_23Merge_v2_magic_divisionINS5_IJiiiiEEEEESN_NS_8RightPadIiiLb0EEESP_NS_7UnMergeISJ_Lb0EEESG_EEENS5_IJNS_8SequenceIJLi0EEEENST_IJLi1EEEENST_IJLi2EEEENST_IJLi3EEEENST_IJLi4EEEENST_IJLi5EEEENST_IJLi6EEEENST_IJLi7EEEENST_IJLi8EEEENST_IJLi9EEEENST_IJLi10EEEENST_IJLi11ELi13ELi15ELi17EEEENST_IJLi12ELi14ELi16ELi18EEEENST_IJLi19EEEENST_IJLi20EEEENST_IJLi22EEEENST_IJLi21EEEEEEENS5_IJNST_IJLi1ELi2ELi3ELi4ELi5EEEES10_S11_S12_S13_S14_NST_IJLi11EEEENST_IJLi12ELi13EEEENST_IJLi14ELi15EEEENST_IJLi16ELi17EEEENST_IJLi18EEEES17_S18_S1A_S19_NST_IJLi23ELi24EEEENST_IJLi25EEEEEEENST_IJLi23ELi25ELi24EEEElEENSB_INS5_IJSR_SP_SP_SR_SG_EEENS5_IJSU_SV_SW_SY_SX_EEENS5_IJNST_IJLi1ELi2EEEESX_SY_NST_IJLi5ELi6EEEES11_EEENST_IJLi5ELi7ELi6EEEElEENSB_INS5_IJSK_SP_SP_EEENS5_IJSU_SV_SW_EEENS5_IJS1P_SX_SY_EEENST_IJLi3ELi4EEEElEELi128ELi128ELi16ELi1ELi4ELi4ELi1ENST_IJLi8ELi2EEEES1Z_NST_IJLi8ELi1ELi1ELi1EEEENST_IJLi2ELi1ELi128ELi1EEEENST_IJLi1ELi2ELi0ELi3EEEES22_NST_IJLi4ELi1ELi1ELi1EEEES22_NST_IJLi1ELi1ELi1ELi1EEEES20_S21_S22_S22_S23_S22_S24_NST_IJLi0ELi1ELi2ELi3ELi4ELi5EEEELi5ELi4EEEfNS5_IJPKfEEEfS8_S8_S9_NSB_INS5_IJSE_SG_SI_SI_SI_SG_SG_SK_SK_SK_SG_SN_SN_SP_SP_SR_SG_SG_NSQ_INS5_IJiNS_17integral_constantIiLi128EEEEEELb0EEENSF_INS2A_IiLi1EEEEEEEENS5_IJSU_SV_SW_SX_SY_SZ_S10_S11_S12_S13_S14_S15_S16_S17_S18_S19_S1A_NST_IJLi23EEEES1J_NST_IJLi24EEEEEEENS5_IJS1C_S10_S11_S12_S13_S14_S1D_S1E_S1F_S1G_S1H_S17_S18_S1A_S19_S1I_S1J_NST_IJLi26EEEENST_IJLi27ELi28EEEENST_IJLi29EEEEEEENST_IJLi26ELi27ELi28ELi29EEEElEENSB_INS5_IJSR_SP_SP_SR_SG_SG_S2D_S2F_EEENS5_IJSU_SV_SW_SY_SX_SZ_S11_S10_EEENS5_IJS1P_SX_SY_S1Q_S11_S12_NST_IJLi9ELi10EEEES1D_EEENST_IJLi8ELi9ELi10ELi11EEEElEENS5_IJNSB_INS5_IJSK_SP_SP_NSQ_INS5_IJiNS2A_IiLi2EEENS2A_IiLi64EEEEEELb0EEES2Z_EEENS5_IJSU_SV_SW_SX_SY_EEENS5_IJS1P_SX_SY_NST_IJLi5ELi6ELi7EEEENST_IJLi8ELi9ELi10EEEEEEENST_IJLi5ELi6ELi7ELi8ELi9ELi10EEEElEEEEES36_NS_31BlockToCTileMap_M00_N00_M01_N01ILi128ELi128ES1Y_Lb0EEENS1_30ComputePtrOffsetOfStridedBatchILi1ELi1ELi1EvEELb1ELb1EEEvPKT0_S3E_T1_PT2_T3_T4_T5_iT6_T7_T8_T9_T10_T11_, .Lfunc_end14-_ZN2ck16tensor_operation6device12_GLOBAL__N_137kernel_grouped_conv_fwd_dl_multiple_dINS_32GridwiseGemmDlMultipleD_km_kn_mnILi256EffNS_5TupleIJfEEEfNS0_12element_wise11PassThroughES8_NS7_7AddReluELNS_25InMemoryDataOperationEnumE0ENS_16TensorDescriptorINS5_IJNS_5EmbedINS5_IJiiiiiEEESD_Lb0EEENS_11PassThroughIiEENS_3PadIiiiLb0EEESI_SI_SG_SG_NSC_INS5_IJiiEEESJ_Lb0EEESK_SK_SG_NS_23Merge_v2_magic_divisionINS5_IJiiiiEEEEESN_NS_8RightPadIiiLb0EEESP_NS_7UnMergeISJ_Lb0EEESG_EEENS5_IJNS_8SequenceIJLi0EEEENST_IJLi1EEEENST_IJLi2EEEENST_IJLi3EEEENST_IJLi4EEEENST_IJLi5EEEENST_IJLi6EEEENST_IJLi7EEEENST_IJLi8EEEENST_IJLi9EEEENST_IJLi10EEEENST_IJLi11ELi13ELi15ELi17EEEENST_IJLi12ELi14ELi16ELi18EEEENST_IJLi19EEEENST_IJLi20EEEENST_IJLi22EEEENST_IJLi21EEEEEEENS5_IJNST_IJLi1ELi2ELi3ELi4ELi5EEEES10_S11_S12_S13_S14_NST_IJLi11EEEENST_IJLi12ELi13EEEENST_IJLi14ELi15EEEENST_IJLi16ELi17EEEENST_IJLi18EEEES17_S18_S1A_S19_NST_IJLi23ELi24EEEENST_IJLi25EEEEEEENST_IJLi23ELi25ELi24EEEElEENSB_INS5_IJSR_SP_SP_SR_SG_EEENS5_IJSU_SV_SW_SY_SX_EEENS5_IJNST_IJLi1ELi2EEEESX_SY_NST_IJLi5ELi6EEEES11_EEENST_IJLi5ELi7ELi6EEEElEENSB_INS5_IJSK_SP_SP_EEENS5_IJSU_SV_SW_EEENS5_IJS1P_SX_SY_EEENST_IJLi3ELi4EEEElEELi128ELi128ELi16ELi1ELi4ELi4ELi1ENST_IJLi8ELi2EEEES1Z_NST_IJLi8ELi1ELi1ELi1EEEENST_IJLi2ELi1ELi128ELi1EEEENST_IJLi1ELi2ELi0ELi3EEEES22_NST_IJLi4ELi1ELi1ELi1EEEES22_NST_IJLi1ELi1ELi1ELi1EEEES20_S21_S22_S22_S23_S22_S24_NST_IJLi0ELi1ELi2ELi3ELi4ELi5EEEELi5ELi4EEEfNS5_IJPKfEEEfS8_S8_S9_NSB_INS5_IJSE_SG_SI_SI_SI_SG_SG_SK_SK_SK_SG_SN_SN_SP_SP_SR_SG_SG_NSQ_INS5_IJiNS_17integral_constantIiLi128EEEEEELb0EEENSF_INS2A_IiLi1EEEEEEEENS5_IJSU_SV_SW_SX_SY_SZ_S10_S11_S12_S13_S14_S15_S16_S17_S18_S19_S1A_NST_IJLi23EEEES1J_NST_IJLi24EEEEEEENS5_IJS1C_S10_S11_S12_S13_S14_S1D_S1E_S1F_S1G_S1H_S17_S18_S1A_S19_S1I_S1J_NST_IJLi26EEEENST_IJLi27ELi28EEEENST_IJLi29EEEEEEENST_IJLi26ELi27ELi28ELi29EEEElEENSB_INS5_IJSR_SP_SP_SR_SG_SG_S2D_S2F_EEENS5_IJSU_SV_SW_SY_SX_SZ_S11_S10_EEENS5_IJS1P_SX_SY_S1Q_S11_S12_NST_IJLi9ELi10EEEES1D_EEENST_IJLi8ELi9ELi10ELi11EEEElEENS5_IJNSB_INS5_IJSK_SP_SP_NSQ_INS5_IJiNS2A_IiLi2EEENS2A_IiLi64EEEEEELb0EEES2Z_EEENS5_IJSU_SV_SW_SX_SY_EEENS5_IJS1P_SX_SY_NST_IJLi5ELi6ELi7EEEENST_IJLi8ELi9ELi10EEEEEEENST_IJLi5ELi6ELi7ELi8ELi9ELi10EEEElEEEEES36_NS_31BlockToCTileMap_M00_N00_M01_N01ILi128ELi128ES1Y_Lb0EEENS1_30ComputePtrOffsetOfStridedBatchILi1ELi1ELi1EvEELb1ELb1EEEvPKT0_S3E_T1_PT2_T3_T4_T5_iT6_T7_T8_T9_T10_T11_
                                        ; -- End function
	.section	.AMDGPU.csdata,"",@progbits
; Kernel info:
; codeLenInByte = 1904
; NumSgprs: 102
; NumVgprs: 246
; ScratchSize: 704
; MemoryBound: 0
; FloatMode: 240
; IeeeMode: 1
; LDSByteSize: 32768 bytes/workgroup (compile time only)
; SGPRBlocks: 12
; VGPRBlocks: 30
; NumSGPRsForWavesPerEU: 102
; NumVGPRsForWavesPerEU: 246
; Occupancy: 5
; WaveLimiterHint : 1
; COMPUTE_PGM_RSRC2:SCRATCH_EN: 1
; COMPUTE_PGM_RSRC2:USER_SGPR: 15
; COMPUTE_PGM_RSRC2:TRAP_HANDLER: 0
; COMPUTE_PGM_RSRC2:TGID_X_EN: 1
; COMPUTE_PGM_RSRC2:TGID_Y_EN: 0
; COMPUTE_PGM_RSRC2:TGID_Z_EN: 0
; COMPUTE_PGM_RSRC2:TIDIG_COMP_CNT: 0
	.text
	.p2align	2                               ; -- Begin function _ZN2ck32GridwiseGemmDlMultipleD_km_kn_mnILi256EffNS_5TupleIJfEEEfNS_16tensor_operation12element_wise11PassThroughES5_NS4_7AddReluELNS_25InMemoryDataOperationEnumE0ENS_16TensorDescriptorINS1_IJNS_5EmbedINS1_IJiiiiiEEESA_Lb0EEENS_11PassThroughIiEENS_3PadIiiiLb0EEESF_SF_SD_SD_NS9_INS1_IJiiEEESG_Lb0EEESH_SH_SD_NS_23Merge_v2_magic_divisionINS1_IJiiiiEEEEESK_NS_8RightPadIiiLb0EEESM_NS_7UnMergeISG_Lb0EEESD_EEENS1_IJNS_8SequenceIJLi0EEEENSQ_IJLi1EEEENSQ_IJLi2EEEENSQ_IJLi3EEEENSQ_IJLi4EEEENSQ_IJLi5EEEENSQ_IJLi6EEEENSQ_IJLi7EEEENSQ_IJLi8EEEENSQ_IJLi9EEEENSQ_IJLi10EEEENSQ_IJLi11ELi13ELi15ELi17EEEENSQ_IJLi12ELi14ELi16ELi18EEEENSQ_IJLi19EEEENSQ_IJLi20EEEENSQ_IJLi22EEEENSQ_IJLi21EEEEEEENS1_IJNSQ_IJLi1ELi2ELi3ELi4ELi5EEEESX_SY_SZ_S10_S11_NSQ_IJLi11EEEENSQ_IJLi12ELi13EEEENSQ_IJLi14ELi15EEEENSQ_IJLi16ELi17EEEENSQ_IJLi18EEEES14_S15_S17_S16_NSQ_IJLi23ELi24EEEENSQ_IJLi25EEEEEEENSQ_IJLi23ELi25ELi24EEEElEENS8_INS1_IJSO_SM_SM_SO_SD_EEENS1_IJSR_SS_ST_SV_SU_EEENS1_IJNSQ_IJLi1ELi2EEEESU_SV_NSQ_IJLi5ELi6EEEESY_EEENSQ_IJLi5ELi7ELi6EEEElEENS8_INS1_IJSH_SM_SM_EEENS1_IJSR_SS_ST_EEENS1_IJS1M_SU_SV_EEENSQ_IJLi3ELi4EEEElEELi128ELi128ELi16ELi1ELi4ELi4ELi1ENSQ_IJLi8ELi2EEEES1W_NSQ_IJLi8ELi1ELi1ELi1EEEENSQ_IJLi2ELi1ELi128ELi1EEEENSQ_IJLi1ELi2ELi0ELi3EEEES1Z_NSQ_IJLi4ELi1ELi1ELi1EEEES1Z_NSQ_IJLi1ELi1ELi1ELi1EEEES1X_S1Y_S1Z_S1Z_S20_S1Z_S21_NSQ_IJLi0ELi1ELi2ELi3ELi4ELi5EEEELi5ELi4EE3RunINS1_IJNS8_INS1_IJSH_SM_SM_NSN_INS1_IJiNS_17integral_constantIiLi2EEENS25_IiLi64EEEEEELb0EEES29_EEENS1_IJSR_SS_ST_SU_SV_EEENS1_IJS1M_SU_SV_NSQ_IJLi5ELi6ELi7EEEENSQ_IJLi8ELi9ELi10EEEEEEENSQ_IJLi5ELi6ELi7ELi8ELi9ELi10EEEElEEEEELb1ELb0ENS_31BlockToCTileMap_M00_N00_M01_N01ILi128ELi128ES1V_Lb0EEEEEvPKfS2L_NS1_IJS2L_EEEPfPvRKS5_S2Q_RKS6_RKNS8_INS1_IJSB_SD_SF_SF_SF_SD_SD_SH_SH_SH_SD_SK_SK_SM_SM_SO_SD_SD_NSN_INS1_IJiNS25_IiLi128EEEEEELb0EEENSC_INS25_IiLi1EEEEEEEENS1_IJSR_SS_ST_SU_SV_SW_SX_SY_SZ_S10_S11_S12_S13_S14_S15_S16_S17_NSQ_IJLi23EEEES1G_NSQ_IJLi24EEEEEEENS1_IJS19_SX_SY_SZ_S10_S11_S1A_S1B_S1C_S1D_S1E_S14_S15_S17_S16_S1F_S1G_NSQ_IJLi26EEEENSQ_IJLi27ELi28EEEENSQ_IJLi29EEEEEEENSQ_IJLi26ELi27ELi28ELi29EEEElEERKNS8_INS1_IJSO_SM_SM_SO_SD_SD_S2V_S2X_EEENS1_IJSR_SS_ST_SV_SU_SW_SY_SX_EEENS1_IJS1M_SU_SV_S1N_SY_SZ_NSQ_IJLi9ELi10EEEES1A_EEENSQ_IJLi8ELi9ELi10ELi11EEEElEERKT_RKS2G_RKT2_NS25_IbXT0_EEENS25_IbXT1_EEE
	.type	_ZN2ck32GridwiseGemmDlMultipleD_km_kn_mnILi256EffNS_5TupleIJfEEEfNS_16tensor_operation12element_wise11PassThroughES5_NS4_7AddReluELNS_25InMemoryDataOperationEnumE0ENS_16TensorDescriptorINS1_IJNS_5EmbedINS1_IJiiiiiEEESA_Lb0EEENS_11PassThroughIiEENS_3PadIiiiLb0EEESF_SF_SD_SD_NS9_INS1_IJiiEEESG_Lb0EEESH_SH_SD_NS_23Merge_v2_magic_divisionINS1_IJiiiiEEEEESK_NS_8RightPadIiiLb0EEESM_NS_7UnMergeISG_Lb0EEESD_EEENS1_IJNS_8SequenceIJLi0EEEENSQ_IJLi1EEEENSQ_IJLi2EEEENSQ_IJLi3EEEENSQ_IJLi4EEEENSQ_IJLi5EEEENSQ_IJLi6EEEENSQ_IJLi7EEEENSQ_IJLi8EEEENSQ_IJLi9EEEENSQ_IJLi10EEEENSQ_IJLi11ELi13ELi15ELi17EEEENSQ_IJLi12ELi14ELi16ELi18EEEENSQ_IJLi19EEEENSQ_IJLi20EEEENSQ_IJLi22EEEENSQ_IJLi21EEEEEEENS1_IJNSQ_IJLi1ELi2ELi3ELi4ELi5EEEESX_SY_SZ_S10_S11_NSQ_IJLi11EEEENSQ_IJLi12ELi13EEEENSQ_IJLi14ELi15EEEENSQ_IJLi16ELi17EEEENSQ_IJLi18EEEES14_S15_S17_S16_NSQ_IJLi23ELi24EEEENSQ_IJLi25EEEEEEENSQ_IJLi23ELi25ELi24EEEElEENS8_INS1_IJSO_SM_SM_SO_SD_EEENS1_IJSR_SS_ST_SV_SU_EEENS1_IJNSQ_IJLi1ELi2EEEESU_SV_NSQ_IJLi5ELi6EEEESY_EEENSQ_IJLi5ELi7ELi6EEEElEENS8_INS1_IJSH_SM_SM_EEENS1_IJSR_SS_ST_EEENS1_IJS1M_SU_SV_EEENSQ_IJLi3ELi4EEEElEELi128ELi128ELi16ELi1ELi4ELi4ELi1ENSQ_IJLi8ELi2EEEES1W_NSQ_IJLi8ELi1ELi1ELi1EEEENSQ_IJLi2ELi1ELi128ELi1EEEENSQ_IJLi1ELi2ELi0ELi3EEEES1Z_NSQ_IJLi4ELi1ELi1ELi1EEEES1Z_NSQ_IJLi1ELi1ELi1ELi1EEEES1X_S1Y_S1Z_S1Z_S20_S1Z_S21_NSQ_IJLi0ELi1ELi2ELi3ELi4ELi5EEEELi5ELi4EE3RunINS1_IJNS8_INS1_IJSH_SM_SM_NSN_INS1_IJiNS_17integral_constantIiLi2EEENS25_IiLi64EEEEEELb0EEES29_EEENS1_IJSR_SS_ST_SU_SV_EEENS1_IJS1M_SU_SV_NSQ_IJLi5ELi6ELi7EEEENSQ_IJLi8ELi9ELi10EEEEEEENSQ_IJLi5ELi6ELi7ELi8ELi9ELi10EEEElEEEEELb1ELb0ENS_31BlockToCTileMap_M00_N00_M01_N01ILi128ELi128ES1V_Lb0EEEEEvPKfS2L_NS1_IJS2L_EEEPfPvRKS5_S2Q_RKS6_RKNS8_INS1_IJSB_SD_SF_SF_SF_SD_SD_SH_SH_SH_SD_SK_SK_SM_SM_SO_SD_SD_NSN_INS1_IJiNS25_IiLi128EEEEEELb0EEENSC_INS25_IiLi1EEEEEEEENS1_IJSR_SS_ST_SU_SV_SW_SX_SY_SZ_S10_S11_S12_S13_S14_S15_S16_S17_NSQ_IJLi23EEEES1G_NSQ_IJLi24EEEEEEENS1_IJS19_SX_SY_SZ_S10_S11_S1A_S1B_S1C_S1D_S1E_S14_S15_S17_S16_S1F_S1G_NSQ_IJLi26EEEENSQ_IJLi27ELi28EEEENSQ_IJLi29EEEEEEENSQ_IJLi26ELi27ELi28ELi29EEEElEERKNS8_INS1_IJSO_SM_SM_SO_SD_SD_S2V_S2X_EEENS1_IJSR_SS_ST_SV_SU_SW_SY_SX_EEENS1_IJS1M_SU_SV_S1N_SY_SZ_NSQ_IJLi9ELi10EEEES1A_EEENSQ_IJLi8ELi9ELi10ELi11EEEElEERKT_RKS2G_RKT2_NS25_IbXT0_EEENS25_IbXT1_EEE,@function
_ZN2ck32GridwiseGemmDlMultipleD_km_kn_mnILi256EffNS_5TupleIJfEEEfNS_16tensor_operation12element_wise11PassThroughES5_NS4_7AddReluELNS_25InMemoryDataOperationEnumE0ENS_16TensorDescriptorINS1_IJNS_5EmbedINS1_IJiiiiiEEESA_Lb0EEENS_11PassThroughIiEENS_3PadIiiiLb0EEESF_SF_SD_SD_NS9_INS1_IJiiEEESG_Lb0EEESH_SH_SD_NS_23Merge_v2_magic_divisionINS1_IJiiiiEEEEESK_NS_8RightPadIiiLb0EEESM_NS_7UnMergeISG_Lb0EEESD_EEENS1_IJNS_8SequenceIJLi0EEEENSQ_IJLi1EEEENSQ_IJLi2EEEENSQ_IJLi3EEEENSQ_IJLi4EEEENSQ_IJLi5EEEENSQ_IJLi6EEEENSQ_IJLi7EEEENSQ_IJLi8EEEENSQ_IJLi9EEEENSQ_IJLi10EEEENSQ_IJLi11ELi13ELi15ELi17EEEENSQ_IJLi12ELi14ELi16ELi18EEEENSQ_IJLi19EEEENSQ_IJLi20EEEENSQ_IJLi22EEEENSQ_IJLi21EEEEEEENS1_IJNSQ_IJLi1ELi2ELi3ELi4ELi5EEEESX_SY_SZ_S10_S11_NSQ_IJLi11EEEENSQ_IJLi12ELi13EEEENSQ_IJLi14ELi15EEEENSQ_IJLi16ELi17EEEENSQ_IJLi18EEEES14_S15_S17_S16_NSQ_IJLi23ELi24EEEENSQ_IJLi25EEEEEEENSQ_IJLi23ELi25ELi24EEEElEENS8_INS1_IJSO_SM_SM_SO_SD_EEENS1_IJSR_SS_ST_SV_SU_EEENS1_IJNSQ_IJLi1ELi2EEEESU_SV_NSQ_IJLi5ELi6EEEESY_EEENSQ_IJLi5ELi7ELi6EEEElEENS8_INS1_IJSH_SM_SM_EEENS1_IJSR_SS_ST_EEENS1_IJS1M_SU_SV_EEENSQ_IJLi3ELi4EEEElEELi128ELi128ELi16ELi1ELi4ELi4ELi1ENSQ_IJLi8ELi2EEEES1W_NSQ_IJLi8ELi1ELi1ELi1EEEENSQ_IJLi2ELi1ELi128ELi1EEEENSQ_IJLi1ELi2ELi0ELi3EEEES1Z_NSQ_IJLi4ELi1ELi1ELi1EEEES1Z_NSQ_IJLi1ELi1ELi1ELi1EEEES1X_S1Y_S1Z_S1Z_S20_S1Z_S21_NSQ_IJLi0ELi1ELi2ELi3ELi4ELi5EEEELi5ELi4EE3RunINS1_IJNS8_INS1_IJSH_SM_SM_NSN_INS1_IJiNS_17integral_constantIiLi2EEENS25_IiLi64EEEEEELb0EEES29_EEENS1_IJSR_SS_ST_SU_SV_EEENS1_IJS1M_SU_SV_NSQ_IJLi5ELi6ELi7EEEENSQ_IJLi8ELi9ELi10EEEEEEENSQ_IJLi5ELi6ELi7ELi8ELi9ELi10EEEElEEEEELb1ELb0ENS_31BlockToCTileMap_M00_N00_M01_N01ILi128ELi128ES1V_Lb0EEEEEvPKfS2L_NS1_IJS2L_EEEPfPvRKS5_S2Q_RKS6_RKNS8_INS1_IJSB_SD_SF_SF_SF_SD_SD_SH_SH_SH_SD_SK_SK_SM_SM_SO_SD_SD_NSN_INS1_IJiNS25_IiLi128EEEEEELb0EEENSC_INS25_IiLi1EEEEEEEENS1_IJSR_SS_ST_SU_SV_SW_SX_SY_SZ_S10_S11_S12_S13_S14_S15_S16_S17_NSQ_IJLi23EEEES1G_NSQ_IJLi24EEEEEEENS1_IJS19_SX_SY_SZ_S10_S11_S1A_S1B_S1C_S1D_S1E_S14_S15_S17_S16_S1F_S1G_NSQ_IJLi26EEEENSQ_IJLi27ELi28EEEENSQ_IJLi29EEEEEEENSQ_IJLi26ELi27ELi28ELi29EEEElEERKNS8_INS1_IJSO_SM_SM_SO_SD_SD_S2V_S2X_EEENS1_IJSR_SS_ST_SV_SU_SW_SY_SX_EEENS1_IJS1M_SU_SV_S1N_SY_SZ_NSQ_IJLi9ELi10EEEES1A_EEENSQ_IJLi8ELi9ELi10ELi11EEEElEERKT_RKS2G_RKT2_NS25_IbXT0_EEENS25_IbXT1_EEE: ; @_ZN2ck32GridwiseGemmDlMultipleD_km_kn_mnILi256EffNS_5TupleIJfEEEfNS_16tensor_operation12element_wise11PassThroughES5_NS4_7AddReluELNS_25InMemoryDataOperationEnumE0ENS_16TensorDescriptorINS1_IJNS_5EmbedINS1_IJiiiiiEEESA_Lb0EEENS_11PassThroughIiEENS_3PadIiiiLb0EEESF_SF_SD_SD_NS9_INS1_IJiiEEESG_Lb0EEESH_SH_SD_NS_23Merge_v2_magic_divisionINS1_IJiiiiEEEEESK_NS_8RightPadIiiLb0EEESM_NS_7UnMergeISG_Lb0EEESD_EEENS1_IJNS_8SequenceIJLi0EEEENSQ_IJLi1EEEENSQ_IJLi2EEEENSQ_IJLi3EEEENSQ_IJLi4EEEENSQ_IJLi5EEEENSQ_IJLi6EEEENSQ_IJLi7EEEENSQ_IJLi8EEEENSQ_IJLi9EEEENSQ_IJLi10EEEENSQ_IJLi11ELi13ELi15ELi17EEEENSQ_IJLi12ELi14ELi16ELi18EEEENSQ_IJLi19EEEENSQ_IJLi20EEEENSQ_IJLi22EEEENSQ_IJLi21EEEEEEENS1_IJNSQ_IJLi1ELi2ELi3ELi4ELi5EEEESX_SY_SZ_S10_S11_NSQ_IJLi11EEEENSQ_IJLi12ELi13EEEENSQ_IJLi14ELi15EEEENSQ_IJLi16ELi17EEEENSQ_IJLi18EEEES14_S15_S17_S16_NSQ_IJLi23ELi24EEEENSQ_IJLi25EEEEEEENSQ_IJLi23ELi25ELi24EEEElEENS8_INS1_IJSO_SM_SM_SO_SD_EEENS1_IJSR_SS_ST_SV_SU_EEENS1_IJNSQ_IJLi1ELi2EEEESU_SV_NSQ_IJLi5ELi6EEEESY_EEENSQ_IJLi5ELi7ELi6EEEElEENS8_INS1_IJSH_SM_SM_EEENS1_IJSR_SS_ST_EEENS1_IJS1M_SU_SV_EEENSQ_IJLi3ELi4EEEElEELi128ELi128ELi16ELi1ELi4ELi4ELi1ENSQ_IJLi8ELi2EEEES1W_NSQ_IJLi8ELi1ELi1ELi1EEEENSQ_IJLi2ELi1ELi128ELi1EEEENSQ_IJLi1ELi2ELi0ELi3EEEES1Z_NSQ_IJLi4ELi1ELi1ELi1EEEES1Z_NSQ_IJLi1ELi1ELi1ELi1EEEES1X_S1Y_S1Z_S1Z_S20_S1Z_S21_NSQ_IJLi0ELi1ELi2ELi3ELi4ELi5EEEELi5ELi4EE3RunINS1_IJNS8_INS1_IJSH_SM_SM_NSN_INS1_IJiNS_17integral_constantIiLi2EEENS25_IiLi64EEEEEELb0EEES29_EEENS1_IJSR_SS_ST_SU_SV_EEENS1_IJS1M_SU_SV_NSQ_IJLi5ELi6ELi7EEEENSQ_IJLi8ELi9ELi10EEEEEEENSQ_IJLi5ELi6ELi7ELi8ELi9ELi10EEEElEEEEELb1ELb0ENS_31BlockToCTileMap_M00_N00_M01_N01ILi128ELi128ES1V_Lb0EEEEEvPKfS2L_NS1_IJS2L_EEEPfPvRKS5_S2Q_RKS6_RKNS8_INS1_IJSB_SD_SF_SF_SF_SD_SD_SH_SH_SH_SD_SK_SK_SM_SM_SO_SD_SD_NSN_INS1_IJiNS25_IiLi128EEEEEELb0EEENSC_INS25_IiLi1EEEEEEEENS1_IJSR_SS_ST_SU_SV_SW_SX_SY_SZ_S10_S11_S12_S13_S14_S15_S16_S17_NSQ_IJLi23EEEES1G_NSQ_IJLi24EEEEEEENS1_IJS19_SX_SY_SZ_S10_S11_S1A_S1B_S1C_S1D_S1E_S14_S15_S17_S16_S1F_S1G_NSQ_IJLi26EEEENSQ_IJLi27ELi28EEEENSQ_IJLi29EEEEEEENSQ_IJLi26ELi27ELi28ELi29EEEElEERKNS8_INS1_IJSO_SM_SM_SO_SD_SD_S2V_S2X_EEENS1_IJSR_SS_ST_SV_SU_SW_SY_SX_EEENS1_IJS1M_SU_SV_S1N_SY_SZ_NSQ_IJLi9ELi10EEEES1A_EEENSQ_IJLi8ELi9ELi10ELi11EEEElEERKT_RKS2G_RKT2_NS25_IbXT0_EEENS25_IbXT1_EEE
; %bb.0:
	s_waitcnt vmcnt(0) expcnt(0) lgkmcnt(0)
	v_dual_mov_b32 v19, v5 :: v_dual_mov_b32 v18, v4
	s_clause 0x2
	flat_load_b128 v[68:71], v[16:17] offset:68
	flat_load_b128 v[96:99], v[16:17] offset:88
	;; [unrolled: 1-line block ×3, first 2 shown]
	flat_load_b32 v84, v[8:9] offset:276
	flat_load_b32 v80, v[16:17] offset:20
	s_clause 0x3
	flat_load_b96 v[48:50], v[8:9] offset:212
	flat_load_b96 v[36:38], v[8:9] offset:228
	;; [unrolled: 1-line block ×4, first 2 shown]
	flat_load_b32 v81, v[10:11] offset:48
	s_clause 0x9
	flat_load_b32 v87, v[8:9] offset:76
	flat_load_b128 v[20:23], v[8:9] offset:60
	flat_load_b128 v[24:27], v[8:9] offset:44
	flat_load_b96 v[51:53], v[8:9] offset:196
	flat_load_b32 v118, v[8:9] offset:312
	flat_load_b32 v85, v[8:9] offset:260
	flat_load_b96 v[115:117], v[8:9] offset:144
	flat_load_b64 v[66:67], v[8:9] offset:128
	flat_load_b64 v[54:55], v[8:9] offset:112
	;; [unrolled: 1-line block ×3, first 2 shown]
	flat_load_b32 v119, v[16:17] offset:36
	s_clause 0x1
	flat_load_b32 v86, v[8:9] offset:36
	flat_load_b128 v[32:35], v[8:9] offset:20
	s_clause 0x1
	flat_load_b32 v83, v[10:11] offset:88
	flat_load_b32 v128, v[10:11] offset:8
	;; [unrolled: 1-line block ×3, first 2 shown]
	flat_load_b64 v[4:5], v[14:15] offset:72
	v_and_b32_e32 v31, 0x3ff, v31
	s_mov_b32 s10, 0
	s_mov_b32 s3, exec_lo
	s_delay_alu instid0(VALU_DEP_1) | instskip(SKIP_1) | instid1(VALU_DEP_2)
	v_lshlrev_b32_e32 v16, 3, v31
	v_lshrrev_b32_e32 v82, 1, v31
	v_and_b32_e32 v39, 8, v16
	s_waitcnt vmcnt(0) lgkmcnt(0)
	v_mul_hi_u32 v5, v71, s12
	s_delay_alu instid0(VALU_DEP_1) | instskip(SKIP_1) | instid1(VALU_DEP_2)
	v_add_nc_u32_e32 v5, s12, v5
	v_sub_nc_u32_e32 v24, v24, v26
	v_lshrrev_b32_e32 v99, v99, v5
	s_delay_alu instid0(VALU_DEP_1) | instskip(NEXT) | instid1(VALU_DEP_1)
	v_mul_hi_u32 v5, v99, v70
	v_add_nc_u32_e32 v5, v99, v5
	s_delay_alu instid0(VALU_DEP_1) | instskip(SKIP_1) | instid1(VALU_DEP_2)
	v_lshrrev_b32_e32 v70, v98, v5
	v_mul_lo_u32 v98, v84, v39
	v_mul_hi_u32 v5, v70, v69
	v_mul_lo_u32 v17, v70, v102
	s_delay_alu instid0(VALU_DEP_3) | instskip(NEXT) | instid1(VALU_DEP_3)
	v_cmp_lt_i32_e32 vcc_lo, v98, v85
	v_add_nc_u32_e32 v5, v70, v5
	s_delay_alu instid0(VALU_DEP_1) | instskip(NEXT) | instid1(VALU_DEP_1)
	v_lshrrev_b32_e32 v69, v97, v5
	v_mul_hi_u32 v5, v69, v68
	s_delay_alu instid0(VALU_DEP_1) | instskip(NEXT) | instid1(VALU_DEP_1)
	v_add_nc_u32_e32 v5, v69, v5
	v_lshrrev_b32_e32 v5, v96, v5
	v_sub_nc_u32_e32 v96, v22, v87
	v_sub_nc_u32_e32 v87, v27, v21
	v_mul_lo_u32 v22, v99, v103
	s_delay_alu instid0(VALU_DEP_4) | instskip(SKIP_1) | instid1(VALU_DEP_2)
	v_mul_lo_u32 v68, v5, v100
	v_sub_nc_u32_e32 v5, v99, v17
	v_sub_nc_u32_e32 v68, v69, v68
	s_delay_alu instid0(VALU_DEP_1) | instskip(SKIP_2) | instid1(VALU_DEP_1)
	v_mad_u64_u32 v[16:17], null, v68, v80, v[5:6]
	v_mul_hi_u32 v5, v98, v50
	v_lshlrev_b32_e32 v68, 1, v31
	v_and_b32_e32 v71, 0x1f8, v68
	s_delay_alu instid0(VALU_DEP_4) | instskip(NEXT) | instid1(VALU_DEP_4)
	v_readfirstlane_b32 s8, v16
	v_add_nc_u32_e32 v5, v98, v5
	s_delay_alu instid0(VALU_DEP_2) | instskip(NEXT) | instid1(VALU_DEP_2)
	v_lshl_or_b32 v192, s8, 7, v82
	v_lshrrev_b32_e32 v16, v38, v5
	s_delay_alu instid0(VALU_DEP_2) | instskip(NEXT) | instid1(VALU_DEP_2)
	v_mul_hi_u32 v5, v30, v192
	v_mul_hi_u32 v17, v16, v49
	v_lshrrev_b32_e32 v30, 5, v31
	v_mul_lo_u32 v27, v16, v53
	v_lshlrev_b32_e32 v31, 2, v31
	v_add_nc_u32_e32 v5, v192, v5
	v_add_nc_u32_e32 v17, v16, v17
	s_delay_alu instid0(VALU_DEP_4) | instskip(NEXT) | instid1(VALU_DEP_3)
	v_sub_nc_u32_e32 v98, v98, v27
	v_lshrrev_b32_e32 v102, v114, v5
	s_delay_alu instid0(VALU_DEP_3) | instskip(SKIP_2) | instid1(VALU_DEP_4)
	v_lshrrev_b32_e32 v100, v37, v17
	v_and_b32_e32 v17, 0x1fc, v68
	v_lshlrev_b32_e32 v5, 6, v30
	v_mul_hi_u32 v29, v102, v29
	s_delay_alu instid0(VALU_DEP_4) | instskip(NEXT) | instid1(VALU_DEP_4)
	v_mul_hi_u32 v68, v100, v48
	v_sub_nc_u32_e32 v17, v17, v71
	v_mul_lo_u32 v21, v100, v52
	v_sub_nc_u32_e32 v5, v71, v5
	s_delay_alu instid0(VALU_DEP_3) | instskip(SKIP_2) | instid1(VALU_DEP_4)
	v_lshl_add_u32 v80, v30, 3, v17
	v_add_nc_u32_e32 v29, v102, v29
	v_add_nc_u32_e32 v17, v100, v68
	v_and_or_b32 v71, v31, 4, v5
	v_sub_nc_u32_e32 v99, v16, v21
	v_mul_lo_u32 v21, v69, v101
	v_lshrrev_b32_e32 v29, v113, v29
	v_lshrrev_b32_e32 v97, v36, v17
	v_sub_nc_u32_e32 v16, s12, v22
	v_mul_lo_u32 v5, v81, v39
	s_delay_alu instid0(VALU_DEP_4)
	v_mul_hi_u32 v17, v29, v28
	v_mul_lo_u32 v28, v102, v117
	v_mul_lo_u32 v26, v97, v51
	v_sub_nc_u32_e32 v21, v70, v21
	v_mul_lo_u32 v22, v29, v116
	v_add_nc_u32_e32 v30, v29, v17
	v_mul_lo_u32 v17, v66, v99
	v_sub_nc_u32_e32 v27, v192, v28
	v_sub_nc_u32_e32 v100, v100, v26
	s_delay_alu instid0(VALU_DEP_4) | instskip(NEXT) | instid1(VALU_DEP_2)
	v_lshrrev_b32_e32 v30, v112, v30
	v_mul_lo_u32 v26, v100, v54
	s_delay_alu instid0(VALU_DEP_4) | instskip(SKIP_1) | instid1(VALU_DEP_4)
	v_mad_u64_u32 v[69:70], null, v67, v27, v[17:18]
	v_mul_lo_u32 v17, v64, v97
	v_mul_lo_u32 v31, v30, v115
	v_sub_nc_u32_e32 v67, v102, v22
	s_delay_alu instid0(VALU_DEP_4) | instskip(SKIP_3) | instid1(VALU_DEP_3)
	v_cmp_ge_i32_e64 s0, v69, v23
	v_cmp_gt_i32_e64 s1, v96, v69
	v_mad_u64_u32 v[27:28], null, v21, v119, v[16:17]
	v_sub_nc_u32_e32 v16, v29, v31
	s_and_b32 s2, s0, s1
	s_delay_alu instid0(SALU_CYCLE_1) | instskip(NEXT) | instid1(VALU_DEP_2)
	s_and_b32 s2, vcc_lo, s2
	v_mad_u64_u32 v[21:22], null, v67, v55, v[26:27]
	s_delay_alu instid0(VALU_DEP_2)
	v_mad_u64_u32 v[67:68], null, v16, v65, v[17:18]
	v_sub_nc_u32_e32 v22, v69, v23
	v_mul_lo_u32 v16, v86, v98
	v_readfirstlane_b32 s9, v27
	v_mul_lo_u32 v27, v30, v32
	v_sub_nc_u32_e32 v17, v21, v20
	v_mul_lo_u32 v22, v22, v35
	v_sub_nc_u32_e32 v26, v67, v25
	v_cmp_ge_i32_e64 s0, v21, v20
	v_cmp_gt_i32_e64 s1, v87, v21
	v_mul_lo_u32 v17, v17, v34
	v_lshl_or_b32 v193, s9, 7, v82
	v_mul_lo_u32 v26, v26, v33
	v_cmp_ge_i32_e32 vcc_lo, v67, v25
	s_and_b32 s1, s0, s1
	v_cmp_gt_i32_e64 s0, v24, v67
	v_mad_u64_u32 v[30:31], null, v128, v193, v[5:6]
	v_add3_u32 v16, v16, v22, v17
	v_mov_b32_e32 v17, 0x31004000
	s_delay_alu instid0(VALU_DEP_4)
	s_and_b32 s0, vcc_lo, s0
	v_cmp_lt_i32_e32 vcc_lo, v192, v129
	s_and_b32 s1, s2, s1
	v_add3_u32 v22, v16, v27, v26
	v_lshlrev_b32_e32 v16, 2, v118
	s_and_b32 s0, s1, s0
	s_delay_alu instid0(SALU_CYCLE_1) | instskip(NEXT) | instid1(VALU_DEP_2)
	s_and_b32 s0, vcc_lo, s0
	v_lshlrev_b32_e32 v31, 2, v22
.LBB15_1:                               ; =>This Inner Loop Header: Depth=1
	v_readfirstlane_b32 s4, v0
	v_readfirstlane_b32 s5, v1
	;; [unrolled: 1-line block ×4, first 2 shown]
	s_delay_alu instid0(VALU_DEP_3) | instskip(NEXT) | instid1(VALU_DEP_2)
	v_cmp_eq_u64_e64 s1, s[4:5], v[0:1]
	v_cmp_eq_u64_e64 s2, s[6:7], v[16:17]
	s_delay_alu instid0(VALU_DEP_1) | instskip(NEXT) | instid1(SALU_CYCLE_1)
	s_and_b32 s1, s1, s2
	s_and_saveexec_b32 s1, s1
	buffer_load_b128 v[26:29], v31, s[4:7], 0 offen
                                        ; implicit-def: $vgpr31
	s_xor_b32 exec_lo, exec_lo, s1
	s_cbranch_execnz .LBB15_1
; %bb.2:
	s_mov_b32 exec_lo, s3
	v_or_b32_e32 v31, 4, v39
	s_delay_alu instid0(VALU_DEP_1) | instskip(NEXT) | instid1(VALU_DEP_1)
	v_mul_lo_u32 v208, v84, v31
	v_mul_hi_u32 v31, v50, v208
	s_delay_alu instid0(VALU_DEP_1) | instskip(NEXT) | instid1(VALU_DEP_1)
	v_add_nc_u32_e32 v31, v208, v31
	v_lshrrev_b32_e32 v31, v38, v31
	s_delay_alu instid0(VALU_DEP_1) | instskip(NEXT) | instid1(VALU_DEP_1)
	v_mul_hi_u32 v32, v31, v49
	v_add_nc_u32_e32 v32, v31, v32
	s_delay_alu instid0(VALU_DEP_1) | instskip(NEXT) | instid1(VALU_DEP_1)
	v_lshrrev_b32_e32 v32, v37, v32
	v_mul_hi_u32 v37, v32, v48
	s_delay_alu instid0(VALU_DEP_1) | instskip(NEXT) | instid1(VALU_DEP_1)
	v_add_nc_u32_e32 v37, v32, v37
	v_lshrrev_b32_e32 v199, v36, v37
	v_mul_lo_u32 v36, v32, v52
	s_delay_alu instid0(VALU_DEP_2) | instskip(SKIP_1) | instid1(VALU_DEP_3)
	v_mul_lo_u32 v37, v199, v51
	v_sub_nc_u32_e32 v38, v199, v97
	v_sub_nc_u32_e32 v209, v31, v36
	v_mul_lo_u32 v36, v31, v53
	s_waitcnt vmcnt(0)
	v_cndmask_b32_e64 v31, 0, v29, s0
	v_mul_lo_u32 v49, v64, v38
	v_sub_nc_u32_e32 v32, v32, v37
	v_sub_nc_u32_e32 v37, v209, v99
	v_cndmask_b32_e64 v38, 0, v26, s0
	v_sub_nc_u32_e32 v210, v208, v36
	s_delay_alu instid0(VALU_DEP_4) | instskip(NEXT) | instid1(VALU_DEP_4)
	v_sub_nc_u32_e32 v48, v32, v100
	v_mul_lo_u32 v29, v66, v37
	v_cndmask_b32_e64 v37, 0, v27, s0
	v_mul_lo_u32 v33, v49, v33
	v_sub_nc_u32_e32 v27, v210, v98
	v_mul_lo_u32 v48, v48, v54
	v_cndmask_b32_e64 v36, 0, v28, s0
	v_add_nc_u32_e32 v28, v67, v49
	v_cmp_lt_i32_e64 s0, v208, v85
	v_add_nc_u32_e32 v26, v69, v29
	v_mul_lo_u32 v29, v29, v35
	v_mul_lo_u32 v35, v86, v27
	v_cmp_le_i32_e64 s3, v25, v28
	v_mul_lo_u32 v34, v48, v34
	v_add_nc_u32_e32 v27, v21, v48
	v_cmp_le_i32_e64 s1, v23, v26
	v_cmp_gt_i32_e64 s2, v96, v26
	v_cmp_gt_i32_e64 s6, v24, v28
	s_delay_alu instid0(VALU_DEP_4)
	v_cmp_le_i32_e64 s4, v20, v27
	v_cmp_gt_i32_e64 s5, v87, v27
	v_add3_u32 v21, v34, v29, v33
	s_and_b32 s1, s1, s2
	s_and_b32 s2, s3, s6
	;; [unrolled: 1-line block ×4, first 2 shown]
	v_add3_u32 v24, v21, v35, v22
	s_and_b32 s0, s0, s1
	s_delay_alu instid0(SALU_CYCLE_1) | instskip(SKIP_1) | instid1(VALU_DEP_1)
	s_and_b32 s0, s0, s2
	s_mov_b32 s2, exec_lo
	v_lshlrev_b32_e32 v25, 2, v24
	s_and_b32 vcc_lo, vcc_lo, s0
.LBB15_3:                               ; =>This Inner Loop Header: Depth=1
	v_readfirstlane_b32 s4, v0
	v_readfirstlane_b32 s5, v1
	;; [unrolled: 1-line block ×4, first 2 shown]
	s_delay_alu instid0(VALU_DEP_3) | instskip(NEXT) | instid1(VALU_DEP_2)
	v_cmp_eq_u64_e64 s0, s[4:5], v[0:1]
	v_cmp_eq_u64_e64 s1, s[6:7], v[16:17]
	s_delay_alu instid0(VALU_DEP_1) | instskip(NEXT) | instid1(SALU_CYCLE_1)
	s_and_b32 s0, s0, s1
	s_and_saveexec_b32 s0, s0
	buffer_load_b128 v[20:23], v25, s[4:7], 0 offen
                                        ; implicit-def: $vgpr25
	s_xor_b32 exec_lo, exec_lo, s0
	s_cbranch_execnz .LBB15_3
; %bb.4:
	s_mov_b32 exec_lo, s2
	s_clause 0x1
	flat_load_b32 v53, v[10:11] offset:32
	flat_load_b32 v25, v[10:11] offset:20
	s_waitcnt vmcnt(2)
	v_dual_cndmask_b32 v33, 0, v23 :: v_dual_cndmask_b32 v34, 0, v22
	v_dual_cndmask_b32 v35, 0, v21 :: v_dual_cndmask_b32 v48, 0, v20
	v_dual_mov_b32 v52, 0x31004000 :: v_dual_lshlrev_b32 v51, 2, v83
	s_mov_b32 s3, exec_lo
	s_waitcnt vmcnt(1) lgkmcnt(1)
	v_cmp_gt_i32_e64 s0, v53, v5
	s_waitcnt vmcnt(0) lgkmcnt(0)
	v_cmp_gt_i32_e32 vcc_lo, v25, v193
	v_lshlrev_b32_e32 v25, 2, v30
	s_delay_alu instid0(VALU_DEP_3)
	s_and_b32 s0, vcc_lo, s0
.LBB15_5:                               ; =>This Inner Loop Header: Depth=1
	v_readfirstlane_b32 s4, v2
	v_readfirstlane_b32 s5, v3
	;; [unrolled: 1-line block ×4, first 2 shown]
	s_delay_alu instid0(VALU_DEP_3) | instskip(NEXT) | instid1(VALU_DEP_2)
	v_cmp_eq_u64_e64 s1, s[4:5], v[2:3]
	v_cmp_eq_u64_e64 s2, s[6:7], v[51:52]
	s_delay_alu instid0(VALU_DEP_1) | instskip(NEXT) | instid1(SALU_CYCLE_1)
	s_and_b32 s1, s1, s2
	s_and_saveexec_b32 s1, s1
	buffer_load_b128 v[20:23], v25, s[4:7], 0 offen
                                        ; implicit-def: $vgpr25
	s_xor_b32 exec_lo, exec_lo, s1
	s_cbranch_execnz .LBB15_5
; %bb.6:
	s_mov_b32 exec_lo, s3
	v_lshlrev_b32_e32 v29, 2, v81
	s_waitcnt vmcnt(0)
	v_cndmask_b32_e64 v49, 0, v23, s0
	v_cndmask_b32_e64 v50, 0, v22, s0
	;; [unrolled: 1-line block ×4, first 2 shown]
	v_add_nc_u32_e32 v25, v29, v5
	v_add_nc_u32_e32 v29, v30, v29
	s_mov_b32 s2, exec_lo
	s_delay_alu instid0(VALU_DEP_2) | instskip(NEXT) | instid1(VALU_DEP_2)
	v_cmp_gt_i32_e64 s1, v53, v25
	v_lshlrev_b32_e32 v5, 2, v29
	s_delay_alu instid0(VALU_DEP_2)
	s_and_b32 vcc_lo, vcc_lo, s1
.LBB15_7:                               ; =>This Inner Loop Header: Depth=1
	v_readfirstlane_b32 s4, v2
	v_readfirstlane_b32 s5, v3
	;; [unrolled: 1-line block ×4, first 2 shown]
	s_delay_alu instid0(VALU_DEP_3) | instskip(NEXT) | instid1(VALU_DEP_2)
	v_cmp_eq_u64_e64 s0, s[4:5], v[2:3]
	v_cmp_eq_u64_e64 s1, s[6:7], v[51:52]
	s_delay_alu instid0(VALU_DEP_1) | instskip(NEXT) | instid1(SALU_CYCLE_1)
	s_and_b32 s0, s0, s1
	s_and_saveexec_b32 s0, s0
	buffer_load_b128 v[20:23], v5, s[4:7], 0 offen
                                        ; implicit-def: $vgpr5
	s_xor_b32 exec_lo, exec_lo, s0
	s_cbranch_execnz .LBB15_7
; %bb.8:
	s_mov_b32 exec_lo, s2
	flat_load_b32 v198, v[8:9] offset:288
	v_dual_mov_b32 v144, 0 :: v_dual_lshlrev_b32 v117, 2, v82
	s_waitcnt vmcnt(1)
	v_dual_cndmask_b32 v23, 0, v23 :: v_dual_cndmask_b32 v22, 0, v22
	v_dual_mov_b32 v147, 0 :: v_dual_lshlrev_b32 v182, 2, v80
	s_delay_alu instid0(VALU_DEP_3)
	v_lshl_or_b32 v194, v39, 9, v117
	v_dual_mov_b32 v30, v208 :: v_dual_lshlrev_b32 v183, 2, v71
	v_dual_mov_b32 v146, 0 :: v_dual_mov_b32 v145, 0
	v_dual_mov_b32 v87, 0 :: v_dual_mov_b32 v86, 0
	;; [unrolled: 1-line block ×30, first 2 shown]
	v_mov_b32_e32 v129, 0
	ds_store_2addr_stride64_b32 v194, v38, v37 offset1:2
	ds_store_2addr_stride64_b32 v194, v36, v31 offset0:4 offset1:6
	ds_store_2addr_stride64_b32 v194, v48, v35 offset0:8 offset1:10
	;; [unrolled: 1-line block ×3, first 2 shown]
	v_or_b32_e32 v195, 0x4000, v194
	ds_store_2addr_stride64_b32 v194, v196, v131 offset0:64 offset1:66
	v_or_b32_e32 v196, 0x2000, v194
	v_or_b32_e32 v197, 0x6000, v194
	v_mov_b32_e32 v131, 0
	v_dual_cndmask_b32 v21, 0, v21 :: v_dual_cndmask_b32 v20, 0, v20
	s_mov_b32 s11, 0
	ds_store_2addr_stride64_b32 v194, v50, v49 offset0:68 offset1:70
	ds_store_2addr_stride64_b32 v194, v20, v21 offset0:72 offset1:74
	;; [unrolled: 1-line block ×3, first 2 shown]
	s_waitcnt vmcnt(0) lgkmcnt(8)
	v_subrev_nc_u32_e32 v198, 32, v198
.LBB15_9:                               ; =>This Loop Header: Depth=1
                                        ;     Child Loop BB15_10 Depth 2
                                        ;     Child Loop BB15_12 Depth 2
	;; [unrolled: 1-line block ×8, first 2 shown]
	s_clause 0x6
	flat_load_b32 v226, v[8:9] offset:276
	flat_load_b96 v[37:39], v[8:9] offset:212
	flat_load_b96 v[34:36], v[8:9] offset:228
	;; [unrolled: 1-line block ×3, first 2 shown]
	flat_load_b32 v231, v[8:9] offset:128
	flat_load_b32 v227, v[8:9] offset:112
	flat_load_b32 v240, v[8:9] offset:96
	s_mov_b32 s3, exec_lo
	flat_load_b32 v241, v[8:9] offset:260
	s_waitcnt vmcnt(7) lgkmcnt(7)
	v_mul_lo_u32 v20, v226, 12
	s_delay_alu instid0(VALU_DEP_1) | instskip(SKIP_2) | instid1(VALU_DEP_2)
	v_add_nc_u32_e32 v208, v20, v208
	v_add_nc_u32_e32 v211, v20, v30
	s_waitcnt vmcnt(6) lgkmcnt(6)
	v_mul_hi_u32 v20, v208, v39
	s_waitcnt vmcnt(0) lgkmcnt(0)
	s_delay_alu instid0(VALU_DEP_2) | instskip(NEXT) | instid1(VALU_DEP_2)
	v_cmp_lt_i32_e64 s0, v211, v241
	v_add_nc_u32_e32 v20, v208, v20
	s_delay_alu instid0(VALU_DEP_1) | instskip(NEXT) | instid1(VALU_DEP_1)
	v_lshrrev_b32_e32 v20, v36, v20
	v_mul_lo_u32 v21, v20, v50
	s_delay_alu instid0(VALU_DEP_1) | instskip(SKIP_1) | instid1(VALU_DEP_2)
	v_sub_nc_u32_e32 v214, v208, v21
	v_mul_hi_u32 v21, v20, v38
	v_sub_nc_u32_e32 v30, v214, v210
	s_delay_alu instid0(VALU_DEP_2) | instskip(NEXT) | instid1(VALU_DEP_1)
	v_add_nc_u32_e32 v21, v20, v21
	v_lshrrev_b32_e32 v21, v35, v21
	s_delay_alu instid0(VALU_DEP_1) | instskip(NEXT) | instid1(VALU_DEP_1)
	v_mul_lo_u32 v22, v21, v49
	v_sub_nc_u32_e32 v229, v20, v22
	v_mul_hi_u32 v22, v21, v37
	s_delay_alu instid0(VALU_DEP_2) | instskip(SKIP_3) | instid1(VALU_DEP_2)
	v_sub_nc_u32_e32 v20, v229, v209
	flat_load_b32 v209, v[10:11] offset:48
	v_add_nc_u32_e32 v22, v21, v22
	v_mul_lo_u32 v31, v20, v231
	v_lshrrev_b32_e32 v230, v34, v22
	s_delay_alu instid0(VALU_DEP_2) | instskip(NEXT) | instid1(VALU_DEP_2)
	v_add_nc_u32_e32 v215, v31, v26
	v_mul_lo_u32 v22, v230, v48
	s_delay_alu instid0(VALU_DEP_1) | instskip(SKIP_1) | instid1(VALU_DEP_2)
	v_sub_nc_u32_e32 v228, v21, v22
	v_sub_nc_u32_e32 v22, v230, v199
	;; [unrolled: 1-line block ×3, first 2 shown]
	s_delay_alu instid0(VALU_DEP_1) | instskip(NEXT) | instid1(VALU_DEP_1)
	v_mul_lo_u32 v26, v21, v227
	v_add_nc_u32_e32 v213, v26, v27
	s_delay_alu instid0(VALU_DEP_4)
	v_mul_lo_u32 v27, v22, v240
	flat_load_b128 v[20:23], v[8:9] offset:24
	v_add_nc_u32_e32 v224, v27, v28
	s_waitcnt vmcnt(0) lgkmcnt(0)
	v_mul_lo_u32 v28, v31, v22
	v_mul_lo_u32 v30, v23, v30
	;; [unrolled: 1-line block ×4, first 2 shown]
	s_delay_alu instid0(VALU_DEP_3) | instskip(NEXT) | instid1(VALU_DEP_1)
	v_add3_u32 v24, v30, v24, v28
	v_add3_u32 v225, v24, v27, v26
	v_mul_lo_u32 v24, v209, 12
	s_delay_alu instid0(VALU_DEP_1)
	v_add_nc_u32_e32 v212, v24, v25
	v_add_nc_u32_e32 v210, v24, v29
	flat_load_b32 v24, v[8:9] offset:248
	s_waitcnt vmcnt(0) lgkmcnt(0)
	v_cmp_lt_i32_e32 vcc_lo, v192, v24
	s_clause 0x1
	flat_load_b128 v[24:27], v[8:9] offset:60
	flat_load_b32 v28, v[8:9] offset:76
	s_waitcnt vmcnt(1) lgkmcnt(1)
	v_cmp_le_i32_e64 s1, v27, v215
	s_waitcnt vmcnt(0) lgkmcnt(0)
	v_sub_nc_u32_e32 v242, v26, v28
	flat_load_b128 v[28:31], v[8:9] offset:44
	v_cmp_gt_i32_e64 s2, v242, v215
	s_delay_alu instid0(VALU_DEP_1) | instskip(NEXT) | instid1(SALU_CYCLE_1)
	s_and_b32 s1, s1, s2
	s_and_b32 s2, s0, s1
	v_cmp_le_i32_e64 s0, v24, v213
	s_waitcnt vmcnt(0) lgkmcnt(0)
	v_sub_nc_u32_e32 v243, v31, v25
	v_sub_nc_u32_e32 v244, v28, v30
	v_lshlrev_b32_e32 v25, 2, v225
	s_delay_alu instid0(VALU_DEP_3) | instskip(NEXT) | instid1(VALU_DEP_1)
	v_cmp_gt_i32_e64 s1, v243, v213
	s_and_b32 s0, s0, s1
	s_delay_alu instid0(VALU_DEP_3) | instskip(SKIP_2) | instid1(VALU_DEP_1)
	v_cmp_gt_i32_e64 s1, v244, v224
	s_and_b32 s2, s2, s0
	v_cmp_le_i32_e64 s0, v29, v224
	s_and_b32 s0, s0, s1
	s_delay_alu instid0(SALU_CYCLE_1) | instskip(NEXT) | instid1(SALU_CYCLE_1)
	s_and_b32 s0, s2, s0
	s_and_b32 s0, vcc_lo, s0
.LBB15_10:                              ;   Parent Loop BB15_9 Depth=1
                                        ; =>  This Inner Loop Header: Depth=2
	v_readfirstlane_b32 s4, v0
	v_readfirstlane_b32 s5, v1
	;; [unrolled: 1-line block ×4, first 2 shown]
	s_delay_alu instid0(VALU_DEP_3) | instskip(NEXT) | instid1(VALU_DEP_2)
	v_cmp_eq_u64_e64 s1, s[4:5], v[0:1]
	v_cmp_eq_u64_e64 s2, s[6:7], v[16:17]
	s_delay_alu instid0(VALU_DEP_1) | instskip(NEXT) | instid1(SALU_CYCLE_1)
	s_and_b32 s1, s1, s2
	s_and_saveexec_b32 s1, s1
	buffer_load_b128 v[30:33], v25, s[4:7], 0 offen
                                        ; implicit-def: $vgpr25
	s_xor_b32 exec_lo, exec_lo, s1
	s_cbranch_execnz .LBB15_10
; %bb.11:                               ;   in Loop: Header=BB15_9 Depth=1
	s_mov_b32 exec_lo, s3
	v_lshlrev_b32_e32 v26, 2, v226
	s_waitcnt vmcnt(0)
	v_cndmask_b32_e64 v33, 0, v33, s0
	s_delay_alu instid0(VALU_DEP_2) | instskip(NEXT) | instid1(VALU_DEP_1)
	v_add_nc_u32_e32 v208, v26, v208
	v_mul_hi_u32 v25, v208, v39
	s_delay_alu instid0(VALU_DEP_1) | instskip(NEXT) | instid1(VALU_DEP_1)
	v_add_nc_u32_e32 v25, v208, v25
	v_lshrrev_b32_e32 v28, v36, v25
	s_delay_alu instid0(VALU_DEP_1) | instskip(SKIP_1) | instid1(VALU_DEP_2)
	v_mul_hi_u32 v25, v28, v38
	v_mul_lo_u32 v38, v28, v50
	v_add_nc_u32_e32 v25, v28, v25
	s_delay_alu instid0(VALU_DEP_1) | instskip(NEXT) | instid1(VALU_DEP_1)
	v_lshrrev_b32_e32 v35, v35, v25
	v_mul_hi_u32 v25, v35, v37
	v_mul_lo_u32 v36, v35, v49
	s_delay_alu instid0(VALU_DEP_2) | instskip(NEXT) | instid1(VALU_DEP_2)
	v_add_nc_u32_e32 v25, v35, v25
	v_sub_nc_u32_e32 v199, v28, v36
	s_delay_alu instid0(VALU_DEP_2) | instskip(NEXT) | instid1(VALU_DEP_2)
	v_lshrrev_b32_e32 v25, v34, v25
	v_sub_nc_u32_e32 v36, v199, v229
	v_cndmask_b32_e64 v34, 0, v32, s0
	v_sub_nc_u32_e32 v32, v208, v38
	s_delay_alu instid0(VALU_DEP_4) | instskip(NEXT) | instid1(VALU_DEP_4)
	v_mul_lo_u32 v37, v25, v48
	v_mul_lo_u32 v38, v36, v231
	v_cndmask_b32_e64 v36, 0, v30, s0
	s_delay_alu instid0(VALU_DEP_4) | instskip(NEXT) | instid1(VALU_DEP_1)
	v_sub_nc_u32_e32 v48, v32, v214
	v_mul_lo_u32 v23, v23, v48
	v_sub_nc_u32_e32 v28, v35, v37
	v_sub_nc_u32_e32 v37, v25, v230
	v_add_nc_u32_e32 v30, v38, v215
	v_mul_lo_u32 v22, v38, v22
	v_cndmask_b32_e64 v35, 0, v31, s0
	v_sub_nc_u32_e32 v39, v28, v228
	v_mul_lo_u32 v37, v37, v240
	v_add_nc_u32_e32 v31, v26, v211
	v_cmp_le_i32_e64 s1, v27, v30
	v_cmp_gt_i32_e64 s2, v242, v30
	v_mul_lo_u32 v39, v39, v227
	v_add3_u32 v22, v23, v225, v22
	v_cmp_lt_i32_e64 s0, v31, v241
	v_mul_lo_u32 v20, v37, v20
	v_add_nc_u32_e32 v26, v37, v224
	s_and_b32 s1, s1, s2
	v_add_nc_u32_e32 v27, v39, v213
	v_mul_lo_u32 v21, v39, v21
	s_delay_alu instid0(VALU_DEP_3) | instskip(SKIP_4) | instid1(VALU_DEP_3)
	v_cmp_le_i32_e64 s3, v29, v26
	v_cmp_gt_i32_e64 s6, v244, v26
	s_and_b32 s0, s0, s1
	v_cmp_le_i32_e64 s4, v24, v27
	v_cmp_gt_i32_e64 s5, v243, v27
	s_and_b32 s2, s3, s6
	v_add3_u32 v24, v22, v20, v21
	s_delay_alu instid0(VALU_DEP_2) | instskip(NEXT) | instid1(SALU_CYCLE_1)
	s_and_b32 s1, s4, s5
	s_and_b32 s0, s0, s1
	s_delay_alu instid0(VALU_DEP_1)
	v_lshlrev_b32_e32 v29, 2, v24
	s_and_b32 s0, s2, s0
	s_mov_b32 s2, exec_lo
	s_and_b32 s0, vcc_lo, s0
.LBB15_12:                              ;   Parent Loop BB15_9 Depth=1
                                        ; =>  This Inner Loop Header: Depth=2
	v_readfirstlane_b32 s4, v0
	v_readfirstlane_b32 s5, v1
	;; [unrolled: 1-line block ×4, first 2 shown]
	s_delay_alu instid0(VALU_DEP_3) | instskip(NEXT) | instid1(VALU_DEP_2)
	v_cmp_eq_u64_e32 vcc_lo, s[4:5], v[0:1]
	v_cmp_eq_u64_e64 s1, s[6:7], v[16:17]
	s_delay_alu instid0(VALU_DEP_1) | instskip(NEXT) | instid1(SALU_CYCLE_1)
	s_and_b32 s1, vcc_lo, s1
	s_and_saveexec_b32 s1, s1
	buffer_load_b128 v[20:23], v29, s[4:7], 0 offen
                                        ; implicit-def: $vgpr29
	s_xor_b32 exec_lo, exec_lo, s1
	s_cbranch_execnz .LBB15_12
; %bb.13:                               ;   in Loop: Header=BB15_9 Depth=1
	s_mov_b32 exec_lo, s2
	s_clause 0x1
	flat_load_b32 v211, v[10:11] offset:32
	flat_load_b32 v29, v[10:11] offset:20
	s_waitcnt vmcnt(2)
	v_cndmask_b32_e64 v37, 0, v23, s0
	v_cndmask_b32_e64 v38, 0, v22, s0
	;; [unrolled: 1-line block ×4, first 2 shown]
	s_mov_b32 s3, exec_lo
	s_waitcnt vmcnt(1) lgkmcnt(1)
	v_cmp_gt_i32_e64 s1, v211, v212
	s_waitcnt vmcnt(0) lgkmcnt(0)
	v_cmp_gt_i32_e32 vcc_lo, v29, v193
	v_lshlrev_b32_e32 v29, 2, v210
	s_delay_alu instid0(VALU_DEP_3)
	s_and_b32 s0, vcc_lo, s1
.LBB15_14:                              ;   Parent Loop BB15_9 Depth=1
                                        ; =>  This Inner Loop Header: Depth=2
	v_readfirstlane_b32 s4, v2
	v_readfirstlane_b32 s5, v3
	;; [unrolled: 1-line block ×4, first 2 shown]
	s_delay_alu instid0(VALU_DEP_3) | instskip(NEXT) | instid1(VALU_DEP_2)
	v_cmp_eq_u64_e64 s1, s[4:5], v[2:3]
	v_cmp_eq_u64_e64 s2, s[6:7], v[51:52]
	s_delay_alu instid0(VALU_DEP_1) | instskip(NEXT) | instid1(SALU_CYCLE_1)
	s_and_b32 s1, s1, s2
	s_and_saveexec_b32 s1, s1
	buffer_load_b128 v[20:23], v29, s[4:7], 0 offen
                                        ; implicit-def: $vgpr29
	s_xor_b32 exec_lo, exec_lo, s1
	s_cbranch_execnz .LBB15_14
; %bb.15:                               ;   in Loop: Header=BB15_9 Depth=1
	s_mov_b32 exec_lo, s3
	v_lshlrev_b32_e32 v50, 2, v209
	s_waitcnt vmcnt(0)
	v_cndmask_b32_e64 v49, 0, v23, s0
	s_mov_b32 s2, exec_lo
	s_delay_alu instid0(VALU_DEP_2) | instskip(SKIP_3) | instid1(VALU_DEP_4)
	v_add_nc_u32_e32 v29, v50, v212
	v_add_nc_u32_e32 v209, v50, v210
	v_cndmask_b32_e64 v50, 0, v22, s0
	v_cndmask_b32_e64 v210, 0, v21, s0
	v_cmp_gt_i32_e64 s1, v211, v29
	v_cndmask_b32_e64 v211, 0, v20, s0
	v_lshlrev_b32_e32 v212, 2, v209
	s_delay_alu instid0(VALU_DEP_3)
	s_and_b32 vcc_lo, vcc_lo, s1
.LBB15_16:                              ;   Parent Loop BB15_9 Depth=1
                                        ; =>  This Inner Loop Header: Depth=2
	v_readfirstlane_b32 s4, v2
	v_readfirstlane_b32 s5, v3
	;; [unrolled: 1-line block ×4, first 2 shown]
	s_delay_alu instid0(VALU_DEP_3) | instskip(NEXT) | instid1(VALU_DEP_2)
	v_cmp_eq_u64_e64 s0, s[4:5], v[2:3]
	v_cmp_eq_u64_e64 s1, s[6:7], v[51:52]
	s_delay_alu instid0(VALU_DEP_1) | instskip(NEXT) | instid1(SALU_CYCLE_1)
	s_and_b32 s0, s0, s1
	s_and_saveexec_b32 s0, s0
	buffer_load_b128 v[20:23], v212, s[4:7], 0 offen
                                        ; implicit-def: $vgpr212
	s_xor_b32 exec_lo, exec_lo, s0
	s_cbranch_execnz .LBB15_16
; %bb.17:                               ;   in Loop: Header=BB15_9 Depth=1
	s_mov_b32 exec_lo, s2
	s_waitcnt vmcnt(0) lgkmcnt(0)
	s_waitcnt_vscnt null, 0x0
	s_barrier
	ds_load_b128 v[212:215], v182
	ds_load_b128 v[224:227], v183 offset:16384
	ds_load_b128 v[228:231], v183 offset:16640
	;; [unrolled: 1-line block ×3, first 2 shown]
	v_dual_cndmask_b32 v23, 0, v23 :: v_dual_cndmask_b32 v22, 0, v22
	v_dual_cndmask_b32 v21, 0, v21 :: v_dual_cndmask_b32 v20, 0, v20
	s_mov_b32 s3, exec_lo
	s_waitcnt lgkmcnt(2)
	;;#ASMSTART
	
             v_fmac_f32 v180, v212, v224 
             
	;;#ASMEND
	;;#ASMSTART
	
             v_fmac_f32 v181, v212, v225 
             
	;;#ASMEND
	;; [unrolled: 5-line block ×16, first 2 shown]
	s_waitcnt lgkmcnt(1)
	;;#ASMSTART
	
             v_fmac_f32 v176, v212, v228 
             
	;;#ASMEND
	;;#ASMSTART
	
             v_fmac_f32 v177, v212, v229 
             
	;;#ASMEND
	;; [unrolled: 5-line block ×16, first 2 shown]
	ds_load_b128 v[212:215], v182 offset:512
	s_waitcnt lgkmcnt(1)
	;;#ASMSTART
	
             v_fmac_f32 v144, v240, v224 
             
	;;#ASMEND
	;;#ASMSTART
	
             v_fmac_f32 v147, v240, v225 
             
	;;#ASMEND
	;; [unrolled: 5-line block ×16, first 2 shown]
	ds_load_b128 v[224:227], v183 offset:16896
	;;#ASMSTART
	
             v_fmac_f32 v134, v240, v228 
             
	;;#ASMEND
	;;#ASMSTART
	
             v_fmac_f32 v135, v240, v229 
             
	;;#ASMEND
	;;#ASMSTART
	
             v_fmac_f32 v132, v240, v230 
             
	;;#ASMEND
	;;#ASMSTART
	
             v_fmac_f32 v133, v240, v231 
             
	;;#ASMEND
	;;#ASMSTART
	
             v_fmac_f32 v98, v241, v228 
             
	;;#ASMEND
	;;#ASMSTART
	
             v_fmac_f32 v99, v241, v229 
             
	;;#ASMEND
	;;#ASMSTART
	
             v_fmac_f32 v96, v241, v230 
             
	;;#ASMEND
	;;#ASMSTART
	
             v_fmac_f32 v97, v241, v231 
             
	;;#ASMEND
	;;#ASMSTART
	
             v_fmac_f32 v114, v242, v228 
             
	;;#ASMEND
	;;#ASMSTART
	
             v_fmac_f32 v115, v242, v229 
             
	;;#ASMEND
	;;#ASMSTART
	
             v_fmac_f32 v112, v242, v230 
             
	;;#ASMEND
	;;#ASMSTART
	
             v_fmac_f32 v113, v242, v231 
             
	;;#ASMEND
	;;#ASMSTART
	
             v_fmac_f32 v130, v243, v228 
             
	;;#ASMEND
	;;#ASMSTART
	
             v_fmac_f32 v128, v243, v229 
             
	;;#ASMEND
	;;#ASMSTART
	
             v_fmac_f32 v129, v243, v230 
             
	;;#ASMEND
	;;#ASMSTART
	
             v_fmac_f32 v131, v243, v231 
             
	;;#ASMEND
	ds_load_b128 v[228:231], v183 offset:17152
	ds_load_b128 v[240:243], v182 offset:768
	s_waitcnt lgkmcnt(2)
	;;#ASMSTART
	
             v_fmac_f32 v180, v212, v224 
             
	;;#ASMEND
	;;#ASMSTART
	
             v_fmac_f32 v181, v212, v225 
             
	;;#ASMEND
	;; [unrolled: 5-line block ×16, first 2 shown]
	s_waitcnt lgkmcnt(1)
	;;#ASMSTART
	
             v_fmac_f32 v176, v212, v228 
             
	;;#ASMEND
	;;#ASMSTART
	
             v_fmac_f32 v177, v212, v229 
             
	;;#ASMEND
	;; [unrolled: 5-line block ×16, first 2 shown]
	ds_load_b128 v[212:215], v182 offset:1024
	s_waitcnt lgkmcnt(1)
	;;#ASMSTART
	
             v_fmac_f32 v144, v240, v224 
             
	;;#ASMEND
	;;#ASMSTART
	
             v_fmac_f32 v147, v240, v225 
             
	;;#ASMEND
	;; [unrolled: 5-line block ×16, first 2 shown]
	ds_load_b128 v[224:227], v183 offset:17408
	;;#ASMSTART
	
             v_fmac_f32 v134, v240, v228 
             
	;;#ASMEND
	;;#ASMSTART
	
             v_fmac_f32 v135, v240, v229 
             
	;;#ASMEND
	;; [unrolled: 5-line block ×16, first 2 shown]
	ds_load_b128 v[228:231], v183 offset:17664
	ds_load_b128 v[240:243], v182 offset:1280
	s_waitcnt lgkmcnt(2)
	;;#ASMSTART
	
             v_fmac_f32 v180, v212, v224 
             
	;;#ASMEND
	;;#ASMSTART
	
             v_fmac_f32 v181, v212, v225 
             
	;;#ASMEND
	;; [unrolled: 5-line block ×16, first 2 shown]
	s_waitcnt lgkmcnt(1)
	;;#ASMSTART
	
             v_fmac_f32 v176, v212, v228 
             
	;;#ASMEND
	;;#ASMSTART
	
             v_fmac_f32 v177, v212, v229 
             
	;;#ASMEND
	;; [unrolled: 5-line block ×16, first 2 shown]
	ds_load_b128 v[212:215], v182 offset:1536
	s_waitcnt lgkmcnt(1)
	;;#ASMSTART
	
             v_fmac_f32 v144, v240, v224 
             
	;;#ASMEND
	;;#ASMSTART
	
             v_fmac_f32 v147, v240, v225 
             
	;;#ASMEND
	;; [unrolled: 5-line block ×16, first 2 shown]
	ds_load_b128 v[224:227], v183 offset:17920
	;;#ASMSTART
	
             v_fmac_f32 v134, v240, v228 
             
	;;#ASMEND
	;;#ASMSTART
	
             v_fmac_f32 v135, v240, v229 
             
	;;#ASMEND
	;; [unrolled: 5-line block ×16, first 2 shown]
	ds_load_b128 v[228:231], v183 offset:18176
	ds_load_b128 v[240:243], v182 offset:1792
	s_waitcnt lgkmcnt(2)
	;;#ASMSTART
	
             v_fmac_f32 v180, v212, v224 
             
	;;#ASMEND
	;;#ASMSTART
	
             v_fmac_f32 v181, v212, v225 
             
	;;#ASMEND
	;;#ASMSTART
	
             v_fmac_f32 v178, v212, v226 
             
	;;#ASMEND
	;;#ASMSTART
	
             v_fmac_f32 v179, v212, v227 
             
	;;#ASMEND
	;;#ASMSTART
	
             v_fmac_f32 v165, v213, v224 
             
	;;#ASMEND
	;;#ASMSTART
	
             v_fmac_f32 v164, v213, v225 
             
	;;#ASMEND
	;;#ASMSTART
	
             v_fmac_f32 v163, v213, v226 
             
	;;#ASMEND
	;;#ASMSTART
	
             v_fmac_f32 v162, v213, v227 
             
	;;#ASMEND
	;;#ASMSTART
	
             v_fmac_f32 v160, v214, v224 
             
	;;#ASMEND
	;;#ASMSTART
	
             v_fmac_f32 v55, v214, v225 
             
	;;#ASMEND
	;;#ASMSTART
	
             v_fmac_f32 v54, v214, v226 
             
	;;#ASMEND
	;;#ASMSTART
	
             v_fmac_f32 v53, v214, v227 
             
	;;#ASMEND
	;;#ASMSTART
	
             v_fmac_f32 v151, v215, v224 
             
	;;#ASMEND
	;;#ASMSTART
	
             v_fmac_f32 v150, v215, v225 
             
	;;#ASMEND
	;;#ASMSTART
	
             v_fmac_f32 v149, v215, v226 
             
	;;#ASMEND
	;;#ASMSTART
	
             v_fmac_f32 v148, v215, v227 
             
	;;#ASMEND
	s_waitcnt lgkmcnt(1)
	;;#ASMSTART
	
             v_fmac_f32 v176, v212, v228 
             
	;;#ASMEND
	;;#ASMSTART
	
             v_fmac_f32 v177, v212, v229 
             
	;;#ASMEND
	;;#ASMSTART
	
             v_fmac_f32 v166, v212, v230 
             
	;;#ASMEND
	;;#ASMSTART
	
             v_fmac_f32 v167, v212, v231 
             
	;;#ASMEND
	;;#ASMSTART
	
             v_fmac_f32 v83, v213, v228 
             
	;;#ASMEND
	;;#ASMSTART
	
             v_fmac_f32 v161, v213, v229 
             
	;;#ASMEND
	;;#ASMSTART
	
             v_fmac_f32 v81, v213, v230 
             
	;;#ASMEND
	;;#ASMSTART
	
             v_fmac_f32 v82, v213, v231 
             
	;;#ASMEND
	;;#ASMSTART
	
             v_fmac_f32 v5, v214, v228 
             
	;;#ASMEND
	;;#ASMSTART
	
             v_fmac_f32 v70, v214, v229 
             
	;;#ASMEND
	;;#ASMSTART
	
             v_fmac_f32 v68, v214, v230 
             
	;;#ASMEND
	;;#ASMSTART
	
             v_fmac_f32 v69, v214, v231 
             
	;;#ASMEND
	;;#ASMSTART
	
             v_fmac_f32 v87, v215, v228 
             
	;;#ASMEND
	;;#ASMSTART
	
             v_fmac_f32 v86, v215, v229 
             
	;;#ASMEND
	;;#ASMSTART
	
             v_fmac_f32 v84, v215, v230 
             
	;;#ASMEND
	;;#ASMSTART
	
             v_fmac_f32 v85, v215, v231 
             
	;;#ASMEND
	ds_load_b128 v[212:215], v182 offset:2048
	s_waitcnt lgkmcnt(1)
	;;#ASMSTART
	
             v_fmac_f32 v144, v240, v224 
             
	;;#ASMEND
	;;#ASMSTART
	
             v_fmac_f32 v147, v240, v225 
             
	;;#ASMEND
	;; [unrolled: 5-line block ×16, first 2 shown]
	ds_load_b128 v[224:227], v183 offset:18432
	;;#ASMSTART
	
             v_fmac_f32 v134, v240, v228 
             
	;;#ASMEND
	;;#ASMSTART
	
             v_fmac_f32 v135, v240, v229 
             
	;;#ASMEND
	;; [unrolled: 5-line block ×16, first 2 shown]
	ds_load_b128 v[228:231], v183 offset:18688
	ds_load_b128 v[240:243], v182 offset:2304
	s_waitcnt lgkmcnt(2)
	;;#ASMSTART
	
             v_fmac_f32 v180, v212, v224 
             
	;;#ASMEND
	;;#ASMSTART
	
             v_fmac_f32 v181, v212, v225 
             
	;;#ASMEND
	;; [unrolled: 5-line block ×16, first 2 shown]
	s_waitcnt lgkmcnt(1)
	;;#ASMSTART
	
             v_fmac_f32 v176, v212, v228 
             
	;;#ASMEND
	;;#ASMSTART
	
             v_fmac_f32 v177, v212, v229 
             
	;;#ASMEND
	;;#ASMSTART
	
             v_fmac_f32 v166, v212, v230 
             
	;;#ASMEND
	;;#ASMSTART
	
             v_fmac_f32 v167, v212, v231 
             
	;;#ASMEND
	;;#ASMSTART
	
             v_fmac_f32 v83, v213, v228 
             
	;;#ASMEND
	;;#ASMSTART
	
             v_fmac_f32 v161, v213, v229 
             
	;;#ASMEND
	;;#ASMSTART
	
             v_fmac_f32 v81, v213, v230 
             
	;;#ASMEND
	;;#ASMSTART
	
             v_fmac_f32 v82, v213, v231 
             
	;;#ASMEND
	;;#ASMSTART
	
             v_fmac_f32 v5, v214, v228 
             
	;;#ASMEND
	;;#ASMSTART
	
             v_fmac_f32 v70, v214, v229 
             
	;;#ASMEND
	;;#ASMSTART
	
             v_fmac_f32 v68, v214, v230 
             
	;;#ASMEND
	;;#ASMSTART
	
             v_fmac_f32 v69, v214, v231 
             
	;;#ASMEND
	;;#ASMSTART
	
             v_fmac_f32 v87, v215, v228 
             
	;;#ASMEND
	;;#ASMSTART
	
             v_fmac_f32 v86, v215, v229 
             
	;;#ASMEND
	;;#ASMSTART
	
             v_fmac_f32 v84, v215, v230 
             
	;;#ASMEND
	;;#ASMSTART
	
             v_fmac_f32 v85, v215, v231 
             
	;;#ASMEND
	ds_load_b128 v[212:215], v182 offset:2560
	s_waitcnt lgkmcnt(1)
	;;#ASMSTART
	
             v_fmac_f32 v144, v240, v224 
             
	;;#ASMEND
	;;#ASMSTART
	
             v_fmac_f32 v147, v240, v225 
             
	;;#ASMEND
	;;#ASMSTART
	
             v_fmac_f32 v146, v240, v226 
             
	;;#ASMEND
	;;#ASMSTART
	
             v_fmac_f32 v145, v240, v227 
             
	;;#ASMEND
	;;#ASMSTART
	
             v_fmac_f32 v67, v241, v224 
             
	;;#ASMEND
	;;#ASMSTART
	
             v_fmac_f32 v66, v241, v225 
             
	;;#ASMEND
	;;#ASMSTART
	
             v_fmac_f32 v65, v241, v226 
             
	;;#ASMEND
	;;#ASMSTART
	
             v_fmac_f32 v64, v241, v227 
             
	;;#ASMEND
	;;#ASMSTART
	
             v_fmac_f32 v103, v242, v224 
             
	;;#ASMEND
	;;#ASMSTART
	
             v_fmac_f32 v102, v242, v225 
             
	;;#ASMEND
	;;#ASMSTART
	
             v_fmac_f32 v101, v242, v226 
             
	;;#ASMEND
	;;#ASMSTART
	
             v_fmac_f32 v100, v242, v227 
             
	;;#ASMEND
	;;#ASMSTART
	
             v_fmac_f32 v119, v243, v224 
             
	;;#ASMEND
	;;#ASMSTART
	
             v_fmac_f32 v118, v243, v225 
             
	;;#ASMEND
	;;#ASMSTART
	
             v_fmac_f32 v116, v243, v226 
             
	;;#ASMEND
	;;#ASMSTART
	
             v_fmac_f32 v117, v243, v227 
             
	;;#ASMEND
	ds_load_b128 v[224:227], v183 offset:18944
	;;#ASMSTART
	
             v_fmac_f32 v134, v240, v228 
             
	;;#ASMEND
	;;#ASMSTART
	
             v_fmac_f32 v135, v240, v229 
             
	;;#ASMEND
	;; [unrolled: 5-line block ×16, first 2 shown]
	ds_load_b128 v[228:231], v183 offset:19200
	ds_load_b128 v[240:243], v182 offset:2816
	s_waitcnt lgkmcnt(2)
	;;#ASMSTART
	
             v_fmac_f32 v180, v212, v224 
             
	;;#ASMEND
	;;#ASMSTART
	
             v_fmac_f32 v181, v212, v225 
             
	;;#ASMEND
	;; [unrolled: 5-line block ×16, first 2 shown]
	s_waitcnt lgkmcnt(1)
	;;#ASMSTART
	
             v_fmac_f32 v176, v212, v228 
             
	;;#ASMEND
	;;#ASMSTART
	
             v_fmac_f32 v177, v212, v229 
             
	;;#ASMEND
	;; [unrolled: 5-line block ×16, first 2 shown]
	ds_load_b128 v[212:215], v182 offset:3072
	s_waitcnt lgkmcnt(1)
	;;#ASMSTART
	
             v_fmac_f32 v144, v240, v224 
             
	;;#ASMEND
	;;#ASMSTART
	
             v_fmac_f32 v147, v240, v225 
             
	;;#ASMEND
	;;#ASMSTART
	
             v_fmac_f32 v146, v240, v226 
             
	;;#ASMEND
	;;#ASMSTART
	
             v_fmac_f32 v145, v240, v227 
             
	;;#ASMEND
	;;#ASMSTART
	
             v_fmac_f32 v67, v241, v224 
             
	;;#ASMEND
	;;#ASMSTART
	
             v_fmac_f32 v66, v241, v225 
             
	;;#ASMEND
	;;#ASMSTART
	
             v_fmac_f32 v65, v241, v226 
             
	;;#ASMEND
	;;#ASMSTART
	
             v_fmac_f32 v64, v241, v227 
             
	;;#ASMEND
	;;#ASMSTART
	
             v_fmac_f32 v103, v242, v224 
             
	;;#ASMEND
	;;#ASMSTART
	
             v_fmac_f32 v102, v242, v225 
             
	;;#ASMEND
	;;#ASMSTART
	
             v_fmac_f32 v101, v242, v226 
             
	;;#ASMEND
	;;#ASMSTART
	
             v_fmac_f32 v100, v242, v227 
             
	;;#ASMEND
	;;#ASMSTART
	
             v_fmac_f32 v119, v243, v224 
             
	;;#ASMEND
	;;#ASMSTART
	
             v_fmac_f32 v118, v243, v225 
             
	;;#ASMEND
	;;#ASMSTART
	
             v_fmac_f32 v116, v243, v226 
             
	;;#ASMEND
	;;#ASMSTART
	
             v_fmac_f32 v117, v243, v227 
             
	;;#ASMEND
	ds_load_b128 v[224:227], v183 offset:19456
	;;#ASMSTART
	
             v_fmac_f32 v134, v240, v228 
             
	;;#ASMEND
	;;#ASMSTART
	
             v_fmac_f32 v135, v240, v229 
             
	;;#ASMEND
	;; [unrolled: 5-line block ×16, first 2 shown]
	ds_load_b128 v[228:231], v183 offset:19712
	ds_load_b128 v[240:243], v182 offset:3328
	s_waitcnt lgkmcnt(2)
	;;#ASMSTART
	
             v_fmac_f32 v180, v212, v224 
             
	;;#ASMEND
	;;#ASMSTART
	
             v_fmac_f32 v181, v212, v225 
             
	;;#ASMEND
	;; [unrolled: 5-line block ×16, first 2 shown]
	s_waitcnt lgkmcnt(1)
	;;#ASMSTART
	
             v_fmac_f32 v176, v212, v228 
             
	;;#ASMEND
	;;#ASMSTART
	
             v_fmac_f32 v177, v212, v229 
             
	;;#ASMEND
	;; [unrolled: 5-line block ×16, first 2 shown]
	ds_load_b128 v[212:215], v182 offset:3584
	s_waitcnt lgkmcnt(1)
	;;#ASMSTART
	
             v_fmac_f32 v144, v240, v224 
             
	;;#ASMEND
	;;#ASMSTART
	
             v_fmac_f32 v147, v240, v225 
             
	;;#ASMEND
	;; [unrolled: 5-line block ×16, first 2 shown]
	ds_load_b128 v[224:227], v183 offset:19968
	;;#ASMSTART
	
             v_fmac_f32 v134, v240, v228 
             
	;;#ASMEND
	;;#ASMSTART
	
             v_fmac_f32 v135, v240, v229 
             
	;;#ASMEND
	;; [unrolled: 5-line block ×16, first 2 shown]
	ds_load_b128 v[228:231], v183 offset:20224
	ds_load_b128 v[240:243], v182 offset:3840
	s_waitcnt lgkmcnt(2)
	;;#ASMSTART
	
             v_fmac_f32 v180, v212, v224 
             
	;;#ASMEND
	;;#ASMSTART
	
             v_fmac_f32 v181, v212, v225 
             
	;;#ASMEND
	;; [unrolled: 5-line block ×16, first 2 shown]
	s_waitcnt lgkmcnt(1)
	;;#ASMSTART
	
             v_fmac_f32 v176, v212, v228 
             
	;;#ASMEND
	;;#ASMSTART
	
             v_fmac_f32 v177, v212, v229 
             
	;;#ASMEND
	;; [unrolled: 5-line block ×16, first 2 shown]
	ds_load_b128 v[212:215], v182 offset:4096
	s_waitcnt lgkmcnt(1)
	;;#ASMSTART
	
             v_fmac_f32 v144, v240, v224 
             
	;;#ASMEND
	;;#ASMSTART
	
             v_fmac_f32 v147, v240, v225 
             
	;;#ASMEND
	;; [unrolled: 5-line block ×16, first 2 shown]
	ds_load_b128 v[224:227], v183 offset:20480
	;;#ASMSTART
	
             v_fmac_f32 v134, v240, v228 
             
	;;#ASMEND
	;;#ASMSTART
	
             v_fmac_f32 v135, v240, v229 
             
	;;#ASMEND
	;; [unrolled: 5-line block ×16, first 2 shown]
	ds_load_b128 v[228:231], v183 offset:20736
	ds_load_b128 v[240:243], v182 offset:4352
	s_waitcnt lgkmcnt(2)
	;;#ASMSTART
	
             v_fmac_f32 v180, v212, v224 
             
	;;#ASMEND
	;;#ASMSTART
	
             v_fmac_f32 v181, v212, v225 
             
	;;#ASMEND
	;; [unrolled: 5-line block ×16, first 2 shown]
	s_waitcnt lgkmcnt(1)
	;;#ASMSTART
	
             v_fmac_f32 v176, v212, v228 
             
	;;#ASMEND
	;;#ASMSTART
	
             v_fmac_f32 v177, v212, v229 
             
	;;#ASMEND
	;; [unrolled: 5-line block ×16, first 2 shown]
	ds_load_b128 v[212:215], v182 offset:4608
	s_waitcnt lgkmcnt(1)
	;;#ASMSTART
	
             v_fmac_f32 v144, v240, v224 
             
	;;#ASMEND
	;;#ASMSTART
	
             v_fmac_f32 v147, v240, v225 
             
	;;#ASMEND
	;; [unrolled: 5-line block ×16, first 2 shown]
	ds_load_b128 v[224:227], v183 offset:20992
	;;#ASMSTART
	
             v_fmac_f32 v134, v240, v228 
             
	;;#ASMEND
	;;#ASMSTART
	
             v_fmac_f32 v135, v240, v229 
             
	;;#ASMEND
	;; [unrolled: 5-line block ×16, first 2 shown]
	ds_load_b128 v[228:231], v183 offset:21248
	ds_load_b128 v[240:243], v182 offset:4864
	s_waitcnt lgkmcnt(2)
	;;#ASMSTART
	
             v_fmac_f32 v180, v212, v224 
             
	;;#ASMEND
	;;#ASMSTART
	
             v_fmac_f32 v181, v212, v225 
             
	;;#ASMEND
	;; [unrolled: 5-line block ×16, first 2 shown]
	s_waitcnt lgkmcnt(1)
	;;#ASMSTART
	
             v_fmac_f32 v176, v212, v228 
             
	;;#ASMEND
	;;#ASMSTART
	
             v_fmac_f32 v177, v212, v229 
             
	;;#ASMEND
	;; [unrolled: 5-line block ×16, first 2 shown]
	ds_load_b128 v[212:215], v182 offset:5120
	s_waitcnt lgkmcnt(1)
	;;#ASMSTART
	
             v_fmac_f32 v144, v240, v224 
             
	;;#ASMEND
	;;#ASMSTART
	
             v_fmac_f32 v147, v240, v225 
             
	;;#ASMEND
	;; [unrolled: 5-line block ×16, first 2 shown]
	ds_load_b128 v[224:227], v183 offset:21504
	;;#ASMSTART
	
             v_fmac_f32 v134, v240, v228 
             
	;;#ASMEND
	;;#ASMSTART
	
             v_fmac_f32 v135, v240, v229 
             
	;;#ASMEND
	;; [unrolled: 5-line block ×16, first 2 shown]
	ds_load_b128 v[228:231], v183 offset:21760
	ds_load_b128 v[240:243], v182 offset:5376
	s_waitcnt lgkmcnt(2)
	;;#ASMSTART
	
             v_fmac_f32 v180, v212, v224 
             
	;;#ASMEND
	;;#ASMSTART
	
             v_fmac_f32 v181, v212, v225 
             
	;;#ASMEND
	;; [unrolled: 5-line block ×16, first 2 shown]
	s_waitcnt lgkmcnt(1)
	;;#ASMSTART
	
             v_fmac_f32 v176, v212, v228 
             
	;;#ASMEND
	;;#ASMSTART
	
             v_fmac_f32 v177, v212, v229 
             
	;;#ASMEND
	;; [unrolled: 5-line block ×16, first 2 shown]
	ds_load_b128 v[212:215], v182 offset:5632
	s_waitcnt lgkmcnt(1)
	;;#ASMSTART
	
             v_fmac_f32 v144, v240, v224 
             
	;;#ASMEND
	;;#ASMSTART
	
             v_fmac_f32 v147, v240, v225 
             
	;;#ASMEND
	;; [unrolled: 5-line block ×16, first 2 shown]
	ds_load_b128 v[224:227], v183 offset:22016
	;;#ASMSTART
	
             v_fmac_f32 v134, v240, v228 
             
	;;#ASMEND
	;;#ASMSTART
	
             v_fmac_f32 v135, v240, v229 
             
	;;#ASMEND
	;; [unrolled: 5-line block ×16, first 2 shown]
	ds_load_b128 v[228:231], v183 offset:22272
	ds_load_b128 v[240:243], v182 offset:5888
	s_waitcnt lgkmcnt(2)
	;;#ASMSTART
	
             v_fmac_f32 v180, v212, v224 
             
	;;#ASMEND
	;;#ASMSTART
	
             v_fmac_f32 v181, v212, v225 
             
	;;#ASMEND
	;; [unrolled: 5-line block ×16, first 2 shown]
	s_waitcnt lgkmcnt(1)
	;;#ASMSTART
	
             v_fmac_f32 v176, v212, v228 
             
	;;#ASMEND
	;;#ASMSTART
	
             v_fmac_f32 v177, v212, v229 
             
	;;#ASMEND
	;; [unrolled: 5-line block ×16, first 2 shown]
	ds_load_b128 v[212:215], v182 offset:6144
	s_waitcnt lgkmcnt(1)
	;;#ASMSTART
	
             v_fmac_f32 v144, v240, v224 
             
	;;#ASMEND
	;;#ASMSTART
	
             v_fmac_f32 v147, v240, v225 
             
	;;#ASMEND
	;; [unrolled: 5-line block ×16, first 2 shown]
	ds_load_b128 v[224:227], v183 offset:22528
	;;#ASMSTART
	
             v_fmac_f32 v134, v240, v228 
             
	;;#ASMEND
	;;#ASMSTART
	
             v_fmac_f32 v135, v240, v229 
             
	;;#ASMEND
	;; [unrolled: 5-line block ×16, first 2 shown]
	ds_load_b128 v[228:231], v183 offset:22784
	ds_load_b128 v[240:243], v182 offset:6400
	s_waitcnt lgkmcnt(2)
	;;#ASMSTART
	
             v_fmac_f32 v180, v212, v224 
             
	;;#ASMEND
	;;#ASMSTART
	
             v_fmac_f32 v181, v212, v225 
             
	;;#ASMEND
	;; [unrolled: 5-line block ×16, first 2 shown]
	s_waitcnt lgkmcnt(1)
	;;#ASMSTART
	
             v_fmac_f32 v176, v212, v228 
             
	;;#ASMEND
	;;#ASMSTART
	
             v_fmac_f32 v177, v212, v229 
             
	;;#ASMEND
	;; [unrolled: 5-line block ×16, first 2 shown]
	ds_load_b128 v[212:215], v182 offset:6656
	s_waitcnt lgkmcnt(1)
	;;#ASMSTART
	
             v_fmac_f32 v144, v240, v224 
             
	;;#ASMEND
	;;#ASMSTART
	
             v_fmac_f32 v147, v240, v225 
             
	;;#ASMEND
	;; [unrolled: 5-line block ×16, first 2 shown]
	ds_load_b128 v[224:227], v183 offset:23040
	;;#ASMSTART
	
             v_fmac_f32 v134, v240, v228 
             
	;;#ASMEND
	;;#ASMSTART
	
             v_fmac_f32 v135, v240, v229 
             
	;;#ASMEND
	;; [unrolled: 5-line block ×16, first 2 shown]
	ds_load_b128 v[228:231], v183 offset:23296
	ds_load_b128 v[240:243], v182 offset:6912
	s_waitcnt lgkmcnt(2)
	;;#ASMSTART
	
             v_fmac_f32 v180, v212, v224 
             
	;;#ASMEND
	;;#ASMSTART
	
             v_fmac_f32 v181, v212, v225 
             
	;;#ASMEND
	;; [unrolled: 5-line block ×16, first 2 shown]
	s_waitcnt lgkmcnt(1)
	;;#ASMSTART
	
             v_fmac_f32 v176, v212, v228 
             
	;;#ASMEND
	;;#ASMSTART
	
             v_fmac_f32 v177, v212, v229 
             
	;;#ASMEND
	;; [unrolled: 5-line block ×16, first 2 shown]
	ds_load_b128 v[212:215], v182 offset:7168
	s_waitcnt lgkmcnt(1)
	;;#ASMSTART
	
             v_fmac_f32 v144, v240, v224 
             
	;;#ASMEND
	;;#ASMSTART
	
             v_fmac_f32 v147, v240, v225 
             
	;;#ASMEND
	;; [unrolled: 5-line block ×16, first 2 shown]
	ds_load_b128 v[224:227], v183 offset:23552
	;;#ASMSTART
	
             v_fmac_f32 v134, v240, v228 
             
	;;#ASMEND
	;;#ASMSTART
	
             v_fmac_f32 v135, v240, v229 
             
	;;#ASMEND
	;; [unrolled: 5-line block ×16, first 2 shown]
	ds_load_b128 v[228:231], v183 offset:23808
	ds_load_b128 v[240:243], v182 offset:7424
	s_waitcnt lgkmcnt(2)
	;;#ASMSTART
	
             v_fmac_f32 v180, v212, v224 
             
	;;#ASMEND
	;;#ASMSTART
	
             v_fmac_f32 v181, v212, v225 
             
	;;#ASMEND
	;; [unrolled: 5-line block ×16, first 2 shown]
	s_waitcnt lgkmcnt(1)
	;;#ASMSTART
	
             v_fmac_f32 v176, v212, v228 
             
	;;#ASMEND
	;;#ASMSTART
	
             v_fmac_f32 v177, v212, v229 
             
	;;#ASMEND
	;; [unrolled: 5-line block ×16, first 2 shown]
	ds_load_b128 v[212:215], v182 offset:7680
	s_waitcnt lgkmcnt(1)
	;;#ASMSTART
	
             v_fmac_f32 v144, v240, v224 
             
	;;#ASMEND
	;;#ASMSTART
	
             v_fmac_f32 v147, v240, v225 
             
	;;#ASMEND
	;;#ASMSTART
	
             v_fmac_f32 v146, v240, v226 
             
	;;#ASMEND
	;;#ASMSTART
	
             v_fmac_f32 v145, v240, v227 
             
	;;#ASMEND
	;;#ASMSTART
	
             v_fmac_f32 v67, v241, v224 
             
	;;#ASMEND
	;;#ASMSTART
	
             v_fmac_f32 v66, v241, v225 
             
	;;#ASMEND
	;;#ASMSTART
	
             v_fmac_f32 v65, v241, v226 
             
	;;#ASMEND
	;;#ASMSTART
	
             v_fmac_f32 v64, v241, v227 
             
	;;#ASMEND
	;;#ASMSTART
	
             v_fmac_f32 v103, v242, v224 
             
	;;#ASMEND
	;;#ASMSTART
	
             v_fmac_f32 v102, v242, v225 
             
	;;#ASMEND
	;;#ASMSTART
	
             v_fmac_f32 v101, v242, v226 
             
	;;#ASMEND
	;;#ASMSTART
	
             v_fmac_f32 v100, v242, v227 
             
	;;#ASMEND
	;;#ASMSTART
	
             v_fmac_f32 v119, v243, v224 
             
	;;#ASMEND
	;;#ASMSTART
	
             v_fmac_f32 v118, v243, v225 
             
	;;#ASMEND
	;;#ASMSTART
	
             v_fmac_f32 v116, v243, v226 
             
	;;#ASMEND
	;;#ASMSTART
	
             v_fmac_f32 v117, v243, v227 
             
	;;#ASMEND
	ds_load_b128 v[224:227], v183 offset:24064
	;;#ASMSTART
	
             v_fmac_f32 v134, v240, v228 
             
	;;#ASMEND
	;;#ASMSTART
	
             v_fmac_f32 v135, v240, v229 
             
	;;#ASMEND
	;; [unrolled: 5-line block ×16, first 2 shown]
	ds_load_b128 v[228:231], v183 offset:24320
	ds_load_b128 v[240:243], v182 offset:7936
	s_waitcnt lgkmcnt(2)
	;;#ASMSTART
	
             v_fmac_f32 v180, v212, v224 
             
	;;#ASMEND
	;;#ASMSTART
	
             v_fmac_f32 v181, v212, v225 
             
	;;#ASMEND
	;; [unrolled: 5-line block ×16, first 2 shown]
	s_waitcnt lgkmcnt(1)
	;;#ASMSTART
	
             v_fmac_f32 v176, v212, v228 
             
	;;#ASMEND
	;;#ASMSTART
	
             v_fmac_f32 v177, v212, v229 
             
	;;#ASMEND
	;; [unrolled: 5-line block ×16, first 2 shown]
	s_waitcnt lgkmcnt(0)
	;;#ASMSTART
	
             v_fmac_f32 v144, v240, v224 
             
	;;#ASMEND
	;;#ASMSTART
	
             v_fmac_f32 v147, v240, v225 
             
	;;#ASMEND
	;; [unrolled: 5-line block ×32, first 2 shown]
	ds_store_2addr_stride64_b32 v196, v35, v34 offset0:2 offset1:4
	ds_store_2addr_stride64_b32 v196, v33, v48 offset0:6 offset1:8
	;; [unrolled: 1-line block ×3, first 2 shown]
	ds_store_b32 v196, v37 offset:3584
	ds_store_2addr_stride64_b32 v194, v36, v211 offset0:32 offset1:96
	ds_store_2addr_stride64_b32 v197, v210, v50 offset0:2 offset1:4
	;; [unrolled: 1-line block ×4, first 2 shown]
	ds_store_b32 v197, v23 offset:3584
	s_clause 0x6
	flat_load_b32 v226, v[8:9] offset:276
	flat_load_b96 v[37:39], v[8:9] offset:212
	flat_load_b96 v[34:36], v[8:9] offset:228
	;; [unrolled: 1-line block ×3, first 2 shown]
	flat_load_b32 v240, v[8:9] offset:128
	flat_load_b32 v230, v[8:9] offset:112
	;; [unrolled: 1-line block ×5, first 2 shown]
	s_waitcnt vmcnt(8) lgkmcnt(8)
	v_mul_lo_u32 v20, v226, 12
	s_delay_alu instid0(VALU_DEP_1) | instskip(SKIP_2) | instid1(VALU_DEP_2)
	v_add_nc_u32_e32 v208, v20, v208
	v_add_nc_u32_e32 v214, v20, v31
	s_waitcnt vmcnt(7) lgkmcnt(7)
	v_mul_hi_u32 v20, v208, v39
	s_waitcnt vmcnt(0) lgkmcnt(0)
	s_delay_alu instid0(VALU_DEP_2) | instskip(NEXT) | instid1(VALU_DEP_2)
	v_cmp_lt_i32_e64 s0, v214, v242
	v_add_nc_u32_e32 v20, v208, v20
	s_delay_alu instid0(VALU_DEP_1) | instskip(NEXT) | instid1(VALU_DEP_1)
	v_lshrrev_b32_e32 v20, v36, v20
	v_mul_lo_u32 v21, v20, v50
	s_delay_alu instid0(VALU_DEP_1) | instskip(SKIP_1) | instid1(VALU_DEP_2)
	v_sub_nc_u32_e32 v215, v208, v21
	v_mul_hi_u32 v21, v20, v38
	v_sub_nc_u32_e32 v31, v215, v32
	s_delay_alu instid0(VALU_DEP_2) | instskip(NEXT) | instid1(VALU_DEP_1)
	v_add_nc_u32_e32 v21, v20, v21
	v_lshrrev_b32_e32 v21, v35, v21
	s_delay_alu instid0(VALU_DEP_1) | instskip(NEXT) | instid1(VALU_DEP_1)
	v_mul_lo_u32 v22, v21, v49
	v_sub_nc_u32_e32 v210, v20, v22
	v_mul_hi_u32 v22, v21, v37
	s_delay_alu instid0(VALU_DEP_2) | instskip(NEXT) | instid1(VALU_DEP_2)
	v_sub_nc_u32_e32 v20, v210, v199
	v_add_nc_u32_e32 v22, v21, v22
	s_delay_alu instid0(VALU_DEP_1) | instskip(NEXT) | instid1(VALU_DEP_1)
	v_lshrrev_b32_e32 v225, v34, v22
	v_mul_lo_u32 v22, v225, v48
	s_delay_alu instid0(VALU_DEP_1) | instskip(SKIP_2) | instid1(VALU_DEP_3)
	v_sub_nc_u32_e32 v224, v21, v22
	v_sub_nc_u32_e32 v22, v225, v25
	v_mul_lo_u32 v25, v20, v240
	v_sub_nc_u32_e32 v21, v224, v28
	s_delay_alu instid0(VALU_DEP_1) | instskip(NEXT) | instid1(VALU_DEP_3)
	v_mul_lo_u32 v28, v21, v230
	v_add_nc_u32_e32 v228, v25, v30
	s_delay_alu instid0(VALU_DEP_2)
	v_add_nc_u32_e32 v227, v28, v27
	v_mul_lo_u32 v27, v22, v241
	flat_load_b128 v[20:23], v[8:9] offset:24
	v_add_nc_u32_e32 v229, v27, v26
	s_waitcnt vmcnt(0) lgkmcnt(0)
	v_mul_lo_u32 v26, v27, v20
	v_mul_lo_u32 v27, v28, v21
	;; [unrolled: 1-line block ×4, first 2 shown]
	s_delay_alu instid0(VALU_DEP_1) | instskip(NEXT) | instid1(VALU_DEP_1)
	v_add3_u32 v24, v28, v24, v25
	v_add3_u32 v231, v24, v26, v27
	v_mul_lo_u32 v24, v211, 12
	s_delay_alu instid0(VALU_DEP_1)
	v_add_nc_u32_e32 v213, v24, v29
	v_add_nc_u32_e32 v212, v24, v209
	flat_load_b32 v24, v[8:9] offset:248
	s_waitcnt vmcnt(0) lgkmcnt(0)
	v_cmp_lt_i32_e32 vcc_lo, v192, v24
	s_clause 0x1
	flat_load_b128 v[24:27], v[8:9] offset:60
	flat_load_b32 v28, v[8:9] offset:76
	s_waitcnt vmcnt(1) lgkmcnt(1)
	v_cmp_le_i32_e64 s1, v27, v228
	s_waitcnt vmcnt(0) lgkmcnt(0)
	v_sub_nc_u32_e32 v243, v26, v28
	flat_load_b128 v[28:31], v[8:9] offset:44
	v_lshlrev_b32_e32 v26, 2, v231
	v_cmp_gt_i32_e64 s2, v243, v228
	s_delay_alu instid0(VALU_DEP_1) | instskip(NEXT) | instid1(SALU_CYCLE_1)
	s_and_b32 s1, s1, s2
	s_and_b32 s2, s0, s1
	v_cmp_le_i32_e64 s0, v24, v227
	s_waitcnt vmcnt(0) lgkmcnt(0)
	v_sub_nc_u32_e32 v25, v31, v25
	v_sub_nc_u32_e32 v244, v28, v30
	s_delay_alu instid0(VALU_DEP_2) | instskip(NEXT) | instid1(VALU_DEP_1)
	v_cmp_gt_i32_e64 s1, v25, v227
	s_and_b32 s0, s0, s1
	s_delay_alu instid0(VALU_DEP_2) | instskip(SKIP_2) | instid1(VALU_DEP_1)
	v_cmp_gt_i32_e64 s1, v244, v229
	s_and_b32 s2, s2, s0
	v_cmp_le_i32_e64 s0, v29, v229
	s_and_b32 s0, s0, s1
	s_delay_alu instid0(SALU_CYCLE_1) | instskip(NEXT) | instid1(SALU_CYCLE_1)
	s_and_b32 s0, s2, s0
	s_and_b32 s0, vcc_lo, s0
.LBB15_18:                              ;   Parent Loop BB15_9 Depth=1
                                        ; =>  This Inner Loop Header: Depth=2
	v_readfirstlane_b32 s4, v0
	v_readfirstlane_b32 s5, v1
	;; [unrolled: 1-line block ×4, first 2 shown]
	s_delay_alu instid0(VALU_DEP_3) | instskip(NEXT) | instid1(VALU_DEP_2)
	v_cmp_eq_u64_e64 s1, s[4:5], v[0:1]
	v_cmp_eq_u64_e64 s2, s[6:7], v[16:17]
	s_delay_alu instid0(VALU_DEP_1) | instskip(NEXT) | instid1(SALU_CYCLE_1)
	s_and_b32 s1, s1, s2
	s_and_saveexec_b32 s1, s1
	buffer_load_b128 v[30:33], v26, s[4:7], 0 offen
                                        ; implicit-def: $vgpr26
	s_xor_b32 exec_lo, exec_lo, s1
	s_cbranch_execnz .LBB15_18
; %bb.19:                               ;   in Loop: Header=BB15_9 Depth=1
	s_mov_b32 exec_lo, s3
	v_lshlrev_b32_e32 v26, 2, v226
	s_waitcnt vmcnt(0)
	v_cndmask_b32_e64 v33, 0, v33, s0
	v_cndmask_b32_e64 v31, 0, v31, s0
	s_delay_alu instid0(VALU_DEP_3) | instskip(NEXT) | instid1(VALU_DEP_1)
	v_add_nc_u32_e32 v208, v26, v208
	v_mul_hi_u32 v28, v208, v39
	s_delay_alu instid0(VALU_DEP_1) | instskip(NEXT) | instid1(VALU_DEP_1)
	v_add_nc_u32_e32 v28, v208, v28
	v_lshrrev_b32_e32 v28, v36, v28
	s_delay_alu instid0(VALU_DEP_1) | instskip(SKIP_1) | instid1(VALU_DEP_2)
	v_mul_hi_u32 v36, v28, v38
	v_mul_lo_u32 v38, v28, v50
	v_add_nc_u32_e32 v36, v28, v36
	s_delay_alu instid0(VALU_DEP_1) | instskip(NEXT) | instid1(VALU_DEP_1)
	v_lshrrev_b32_e32 v35, v35, v36
	v_mul_hi_u32 v36, v35, v37
	v_mul_lo_u32 v37, v35, v49
	s_delay_alu instid0(VALU_DEP_2) | instskip(NEXT) | instid1(VALU_DEP_2)
	v_add_nc_u32_e32 v36, v35, v36
	v_sub_nc_u32_e32 v209, v28, v37
	s_delay_alu instid0(VALU_DEP_2) | instskip(SKIP_1) | instid1(VALU_DEP_3)
	v_lshrrev_b32_e32 v199, v34, v36
	v_cndmask_b32_e64 v34, 0, v32, s0
	v_sub_nc_u32_e32 v28, v209, v210
	v_sub_nc_u32_e32 v210, v208, v38
	s_delay_alu instid0(VALU_DEP_4) | instskip(NEXT) | instid1(VALU_DEP_3)
	v_mul_lo_u32 v36, v199, v48
	v_mul_lo_u32 v28, v28, v240
	s_delay_alu instid0(VALU_DEP_3) | instskip(NEXT) | instid1(VALU_DEP_1)
	v_sub_nc_u32_e32 v37, v210, v215
	v_mul_lo_u32 v23, v23, v37
	s_delay_alu instid0(VALU_DEP_4) | instskip(SKIP_2) | instid1(VALU_DEP_3)
	v_sub_nc_u32_e32 v32, v35, v36
	v_sub_nc_u32_e32 v35, v199, v225
	v_mul_lo_u32 v22, v28, v22
	v_sub_nc_u32_e32 v36, v32, v224
	s_delay_alu instid0(VALU_DEP_3)
	v_mul_lo_u32 v38, v35, v241
	v_cndmask_b32_e64 v35, 0, v30, s0
	v_add_nc_u32_e32 v30, v26, v214
	v_add_nc_u32_e32 v26, v28, v228
	v_mul_lo_u32 v36, v36, v230
	v_add3_u32 v22, v23, v231, v22
	s_delay_alu instid0(VALU_DEP_4)
	v_cmp_lt_i32_e64 s0, v30, v242
	v_mul_lo_u32 v20, v38, v20
	v_cmp_le_i32_e64 s1, v27, v26
	v_add_nc_u32_e32 v28, v38, v229
	v_cmp_gt_i32_e64 s2, v243, v26
	v_add_nc_u32_e32 v27, v36, v227
	v_mul_lo_u32 v21, v36, v21
	s_delay_alu instid0(VALU_DEP_4) | instskip(SKIP_1) | instid1(VALU_DEP_4)
	v_cmp_le_i32_e64 s3, v29, v28
	v_cmp_gt_i32_e64 s6, v244, v28
	v_cmp_le_i32_e64 s4, v24, v27
	v_cmp_gt_i32_e64 s5, v25, v27
	s_and_b32 s1, s1, s2
	v_add3_u32 v24, v22, v20, v21
	s_and_b32 s0, s0, s1
	s_delay_alu instid0(VALU_DEP_2)
	s_and_b32 s1, s4, s5
	s_and_b32 s2, s3, s6
	;; [unrolled: 1-line block ×3, first 2 shown]
	v_lshlrev_b32_e32 v25, 2, v24
	s_and_b32 s0, s2, s0
	s_mov_b32 s2, exec_lo
	s_and_b32 s0, vcc_lo, s0
.LBB15_20:                              ;   Parent Loop BB15_9 Depth=1
                                        ; =>  This Inner Loop Header: Depth=2
	v_readfirstlane_b32 s4, v0
	v_readfirstlane_b32 s5, v1
	;; [unrolled: 1-line block ×4, first 2 shown]
	s_delay_alu instid0(VALU_DEP_3) | instskip(NEXT) | instid1(VALU_DEP_2)
	v_cmp_eq_u64_e32 vcc_lo, s[4:5], v[0:1]
	v_cmp_eq_u64_e64 s1, s[6:7], v[16:17]
	s_delay_alu instid0(VALU_DEP_1) | instskip(NEXT) | instid1(SALU_CYCLE_1)
	s_and_b32 s1, vcc_lo, s1
	s_and_saveexec_b32 s1, s1
	buffer_load_b128 v[20:23], v25, s[4:7], 0 offen
                                        ; implicit-def: $vgpr25
	s_xor_b32 exec_lo, exec_lo, s1
	s_cbranch_execnz .LBB15_20
; %bb.21:                               ;   in Loop: Header=BB15_9 Depth=1
	s_mov_b32 exec_lo, s2
	s_clause 0x1
	flat_load_b32 v50, v[10:11] offset:32
	flat_load_b32 v25, v[10:11] offset:20
	s_waitcnt vmcnt(2)
	v_cndmask_b32_e64 v36, 0, v23, s0
	v_cndmask_b32_e64 v37, 0, v22, s0
	;; [unrolled: 1-line block ×4, first 2 shown]
	s_mov_b32 s3, exec_lo
	s_waitcnt vmcnt(1) lgkmcnt(1)
	v_cmp_gt_i32_e64 s1, v50, v213
	s_waitcnt vmcnt(0) lgkmcnt(0)
	v_cmp_gt_i32_e32 vcc_lo, v25, v193
	v_lshlrev_b32_e32 v25, 2, v212
	s_delay_alu instid0(VALU_DEP_3)
	s_and_b32 s0, vcc_lo, s1
.LBB15_22:                              ;   Parent Loop BB15_9 Depth=1
                                        ; =>  This Inner Loop Header: Depth=2
	v_readfirstlane_b32 s4, v2
	v_readfirstlane_b32 s5, v3
	;; [unrolled: 1-line block ×4, first 2 shown]
	s_delay_alu instid0(VALU_DEP_3) | instskip(NEXT) | instid1(VALU_DEP_2)
	v_cmp_eq_u64_e64 s1, s[4:5], v[2:3]
	v_cmp_eq_u64_e64 s2, s[6:7], v[51:52]
	s_delay_alu instid0(VALU_DEP_1) | instskip(NEXT) | instid1(SALU_CYCLE_1)
	s_and_b32 s1, s1, s2
	s_and_saveexec_b32 s1, s1
	buffer_load_b128 v[20:23], v25, s[4:7], 0 offen
                                        ; implicit-def: $vgpr25
	s_xor_b32 exec_lo, exec_lo, s1
	s_cbranch_execnz .LBB15_22
; %bb.23:                               ;   in Loop: Header=BB15_9 Depth=1
	s_mov_b32 exec_lo, s3
	v_lshlrev_b32_e32 v29, 2, v211
	s_waitcnt vmcnt(0)
	v_cndmask_b32_e64 v48, 0, v23, s0
	v_cndmask_b32_e64 v49, 0, v22, s0
	;; [unrolled: 1-line block ×3, first 2 shown]
	s_mov_b32 s2, exec_lo
	v_add_nc_u32_e32 v25, v29, v213
	v_add_nc_u32_e32 v29, v29, v212
	s_delay_alu instid0(VALU_DEP_2) | instskip(SKIP_1) | instid1(VALU_DEP_3)
	v_cmp_gt_i32_e64 s1, v50, v25
	v_cndmask_b32_e64 v50, 0, v20, s0
	v_lshlrev_b32_e32 v212, 2, v29
	s_delay_alu instid0(VALU_DEP_3)
	s_and_b32 vcc_lo, vcc_lo, s1
.LBB15_24:                              ;   Parent Loop BB15_9 Depth=1
                                        ; =>  This Inner Loop Header: Depth=2
	v_readfirstlane_b32 s4, v2
	v_readfirstlane_b32 s5, v3
	;; [unrolled: 1-line block ×4, first 2 shown]
	s_delay_alu instid0(VALU_DEP_3) | instskip(NEXT) | instid1(VALU_DEP_2)
	v_cmp_eq_u64_e64 s0, s[4:5], v[2:3]
	v_cmp_eq_u64_e64 s1, s[6:7], v[51:52]
	s_delay_alu instid0(VALU_DEP_1) | instskip(NEXT) | instid1(SALU_CYCLE_1)
	s_and_b32 s0, s0, s1
	s_and_saveexec_b32 s0, s0
	buffer_load_b128 v[20:23], v212, s[4:7], 0 offen
                                        ; implicit-def: $vgpr212
	s_xor_b32 exec_lo, exec_lo, s0
	s_cbranch_execnz .LBB15_24
; %bb.25:                               ;   in Loop: Header=BB15_9 Depth=1
	s_mov_b32 exec_lo, s2
	s_waitcnt vmcnt(0) lgkmcnt(0)
	s_barrier
	ds_load_b128 v[212:215], v182 offset:8192
	ds_load_b128 v[224:227], v183 offset:24576
	ds_load_b128 v[228:231], v183 offset:24832
	ds_load_b128 v[240:243], v182 offset:8448
	s_add_i32 s11, s11, 32
	v_dual_cndmask_b32 v244, 0, v23 :: v_dual_cndmask_b32 v245, 0, v22
	s_waitcnt lgkmcnt(2)
	;;#ASMSTART
	
             v_fmac_f32 v180, v212, v224 
             
	;;#ASMEND
	;;#ASMSTART
	
             v_fmac_f32 v181, v212, v225 
             
	;;#ASMEND
	;; [unrolled: 5-line block ×16, first 2 shown]
	s_waitcnt lgkmcnt(1)
	;;#ASMSTART
	
             v_fmac_f32 v176, v212, v228 
             
	;;#ASMEND
	;;#ASMSTART
	
             v_fmac_f32 v177, v212, v229 
             
	;;#ASMEND
	;; [unrolled: 5-line block ×16, first 2 shown]
	ds_load_b128 v[212:215], v182 offset:8704
	s_waitcnt lgkmcnt(1)
	;;#ASMSTART
	
             v_fmac_f32 v144, v240, v224 
             
	;;#ASMEND
	;;#ASMSTART
	
             v_fmac_f32 v147, v240, v225 
             
	;;#ASMEND
	;; [unrolled: 5-line block ×16, first 2 shown]
	ds_load_b128 v[224:227], v183 offset:25088
	;;#ASMSTART
	
             v_fmac_f32 v134, v240, v228 
             
	;;#ASMEND
	;;#ASMSTART
	
             v_fmac_f32 v135, v240, v229 
             
	;;#ASMEND
	;; [unrolled: 5-line block ×16, first 2 shown]
	ds_load_b128 v[228:231], v183 offset:25344
	ds_load_b128 v[240:243], v182 offset:8960
	s_waitcnt lgkmcnt(2)
	;;#ASMSTART
	
             v_fmac_f32 v180, v212, v224 
             
	;;#ASMEND
	;;#ASMSTART
	
             v_fmac_f32 v181, v212, v225 
             
	;;#ASMEND
	;; [unrolled: 5-line block ×16, first 2 shown]
	s_waitcnt lgkmcnt(1)
	;;#ASMSTART
	
             v_fmac_f32 v176, v212, v228 
             
	;;#ASMEND
	;;#ASMSTART
	
             v_fmac_f32 v177, v212, v229 
             
	;;#ASMEND
	;; [unrolled: 5-line block ×16, first 2 shown]
	ds_load_b128 v[212:215], v182 offset:9216
	s_waitcnt lgkmcnt(1)
	;;#ASMSTART
	
             v_fmac_f32 v144, v240, v224 
             
	;;#ASMEND
	;;#ASMSTART
	
             v_fmac_f32 v147, v240, v225 
             
	;;#ASMEND
	;; [unrolled: 5-line block ×16, first 2 shown]
	ds_load_b128 v[224:227], v183 offset:25600
	;;#ASMSTART
	
             v_fmac_f32 v134, v240, v228 
             
	;;#ASMEND
	;;#ASMSTART
	
             v_fmac_f32 v135, v240, v229 
             
	;;#ASMEND
	;; [unrolled: 5-line block ×16, first 2 shown]
	ds_load_b128 v[228:231], v183 offset:25856
	ds_load_b128 v[240:243], v182 offset:9472
	s_waitcnt lgkmcnt(2)
	;;#ASMSTART
	
             v_fmac_f32 v180, v212, v224 
             
	;;#ASMEND
	;;#ASMSTART
	
             v_fmac_f32 v181, v212, v225 
             
	;;#ASMEND
	;; [unrolled: 5-line block ×16, first 2 shown]
	s_waitcnt lgkmcnt(1)
	;;#ASMSTART
	
             v_fmac_f32 v176, v212, v228 
             
	;;#ASMEND
	;;#ASMSTART
	
             v_fmac_f32 v177, v212, v229 
             
	;;#ASMEND
	;; [unrolled: 5-line block ×16, first 2 shown]
	ds_load_b128 v[212:215], v182 offset:9728
	s_waitcnt lgkmcnt(1)
	;;#ASMSTART
	
             v_fmac_f32 v144, v240, v224 
             
	;;#ASMEND
	;;#ASMSTART
	
             v_fmac_f32 v147, v240, v225 
             
	;;#ASMEND
	;; [unrolled: 5-line block ×16, first 2 shown]
	ds_load_b128 v[224:227], v183 offset:26112
	;;#ASMSTART
	
             v_fmac_f32 v134, v240, v228 
             
	;;#ASMEND
	;;#ASMSTART
	
             v_fmac_f32 v135, v240, v229 
             
	;;#ASMEND
	;; [unrolled: 5-line block ×16, first 2 shown]
	ds_load_b128 v[228:231], v183 offset:26368
	ds_load_b128 v[240:243], v182 offset:9984
	s_waitcnt lgkmcnt(2)
	;;#ASMSTART
	
             v_fmac_f32 v180, v212, v224 
             
	;;#ASMEND
	;;#ASMSTART
	
             v_fmac_f32 v181, v212, v225 
             
	;;#ASMEND
	;; [unrolled: 5-line block ×16, first 2 shown]
	s_waitcnt lgkmcnt(1)
	;;#ASMSTART
	
             v_fmac_f32 v176, v212, v228 
             
	;;#ASMEND
	;;#ASMSTART
	
             v_fmac_f32 v177, v212, v229 
             
	;;#ASMEND
	;;#ASMSTART
	
             v_fmac_f32 v166, v212, v230 
             
	;;#ASMEND
	;;#ASMSTART
	
             v_fmac_f32 v167, v212, v231 
             
	;;#ASMEND
	;;#ASMSTART
	
             v_fmac_f32 v83, v213, v228 
             
	;;#ASMEND
	;;#ASMSTART
	
             v_fmac_f32 v161, v213, v229 
             
	;;#ASMEND
	;;#ASMSTART
	
             v_fmac_f32 v81, v213, v230 
             
	;;#ASMEND
	;;#ASMSTART
	
             v_fmac_f32 v82, v213, v231 
             
	;;#ASMEND
	;;#ASMSTART
	
             v_fmac_f32 v5, v214, v228 
             
	;;#ASMEND
	;;#ASMSTART
	
             v_fmac_f32 v70, v214, v229 
             
	;;#ASMEND
	;;#ASMSTART
	
             v_fmac_f32 v68, v214, v230 
             
	;;#ASMEND
	;;#ASMSTART
	
             v_fmac_f32 v69, v214, v231 
             
	;;#ASMEND
	;;#ASMSTART
	
             v_fmac_f32 v87, v215, v228 
             
	;;#ASMEND
	;;#ASMSTART
	
             v_fmac_f32 v86, v215, v229 
             
	;;#ASMEND
	;;#ASMSTART
	
             v_fmac_f32 v84, v215, v230 
             
	;;#ASMEND
	;;#ASMSTART
	
             v_fmac_f32 v85, v215, v231 
             
	;;#ASMEND
	ds_load_b128 v[212:215], v182 offset:10240
	s_waitcnt lgkmcnt(1)
	;;#ASMSTART
	
             v_fmac_f32 v144, v240, v224 
             
	;;#ASMEND
	;;#ASMSTART
	
             v_fmac_f32 v147, v240, v225 
             
	;;#ASMEND
	;; [unrolled: 5-line block ×16, first 2 shown]
	ds_load_b128 v[224:227], v183 offset:26624
	;;#ASMSTART
	
             v_fmac_f32 v134, v240, v228 
             
	;;#ASMEND
	;;#ASMSTART
	
             v_fmac_f32 v135, v240, v229 
             
	;;#ASMEND
	;; [unrolled: 5-line block ×16, first 2 shown]
	ds_load_b128 v[228:231], v183 offset:26880
	ds_load_b128 v[240:243], v182 offset:10496
	s_waitcnt lgkmcnt(2)
	;;#ASMSTART
	
             v_fmac_f32 v180, v212, v224 
             
	;;#ASMEND
	;;#ASMSTART
	
             v_fmac_f32 v181, v212, v225 
             
	;;#ASMEND
	;;#ASMSTART
	
             v_fmac_f32 v178, v212, v226 
             
	;;#ASMEND
	;;#ASMSTART
	
             v_fmac_f32 v179, v212, v227 
             
	;;#ASMEND
	;;#ASMSTART
	
             v_fmac_f32 v165, v213, v224 
             
	;;#ASMEND
	;;#ASMSTART
	
             v_fmac_f32 v164, v213, v225 
             
	;;#ASMEND
	;;#ASMSTART
	
             v_fmac_f32 v163, v213, v226 
             
	;;#ASMEND
	;;#ASMSTART
	
             v_fmac_f32 v162, v213, v227 
             
	;;#ASMEND
	;;#ASMSTART
	
             v_fmac_f32 v160, v214, v224 
             
	;;#ASMEND
	;;#ASMSTART
	
             v_fmac_f32 v55, v214, v225 
             
	;;#ASMEND
	;;#ASMSTART
	
             v_fmac_f32 v54, v214, v226 
             
	;;#ASMEND
	;;#ASMSTART
	
             v_fmac_f32 v53, v214, v227 
             
	;;#ASMEND
	;;#ASMSTART
	
             v_fmac_f32 v151, v215, v224 
             
	;;#ASMEND
	;;#ASMSTART
	
             v_fmac_f32 v150, v215, v225 
             
	;;#ASMEND
	;;#ASMSTART
	
             v_fmac_f32 v149, v215, v226 
             
	;;#ASMEND
	;;#ASMSTART
	
             v_fmac_f32 v148, v215, v227 
             
	;;#ASMEND
	s_waitcnt lgkmcnt(1)
	;;#ASMSTART
	
             v_fmac_f32 v176, v212, v228 
             
	;;#ASMEND
	;;#ASMSTART
	
             v_fmac_f32 v177, v212, v229 
             
	;;#ASMEND
	;; [unrolled: 5-line block ×16, first 2 shown]
	ds_load_b128 v[212:215], v182 offset:10752
	s_waitcnt lgkmcnt(1)
	;;#ASMSTART
	
             v_fmac_f32 v144, v240, v224 
             
	;;#ASMEND
	;;#ASMSTART
	
             v_fmac_f32 v147, v240, v225 
             
	;;#ASMEND
	;; [unrolled: 5-line block ×16, first 2 shown]
	ds_load_b128 v[224:227], v183 offset:27136
	;;#ASMSTART
	
             v_fmac_f32 v134, v240, v228 
             
	;;#ASMEND
	;;#ASMSTART
	
             v_fmac_f32 v135, v240, v229 
             
	;;#ASMEND
	;;#ASMSTART
	
             v_fmac_f32 v132, v240, v230 
             
	;;#ASMEND
	;;#ASMSTART
	
             v_fmac_f32 v133, v240, v231 
             
	;;#ASMEND
	;;#ASMSTART
	
             v_fmac_f32 v98, v241, v228 
             
	;;#ASMEND
	;;#ASMSTART
	
             v_fmac_f32 v99, v241, v229 
             
	;;#ASMEND
	;;#ASMSTART
	
             v_fmac_f32 v96, v241, v230 
             
	;;#ASMEND
	;;#ASMSTART
	
             v_fmac_f32 v97, v241, v231 
             
	;;#ASMEND
	;;#ASMSTART
	
             v_fmac_f32 v114, v242, v228 
             
	;;#ASMEND
	;;#ASMSTART
	
             v_fmac_f32 v115, v242, v229 
             
	;;#ASMEND
	;;#ASMSTART
	
             v_fmac_f32 v112, v242, v230 
             
	;;#ASMEND
	;;#ASMSTART
	
             v_fmac_f32 v113, v242, v231 
             
	;;#ASMEND
	;;#ASMSTART
	
             v_fmac_f32 v130, v243, v228 
             
	;;#ASMEND
	;;#ASMSTART
	
             v_fmac_f32 v128, v243, v229 
             
	;;#ASMEND
	;;#ASMSTART
	
             v_fmac_f32 v129, v243, v230 
             
	;;#ASMEND
	;;#ASMSTART
	
             v_fmac_f32 v131, v243, v231 
             
	;;#ASMEND
	ds_load_b128 v[228:231], v183 offset:27392
	ds_load_b128 v[240:243], v182 offset:11008
	s_waitcnt lgkmcnt(2)
	;;#ASMSTART
	
             v_fmac_f32 v180, v212, v224 
             
	;;#ASMEND
	;;#ASMSTART
	
             v_fmac_f32 v181, v212, v225 
             
	;;#ASMEND
	;; [unrolled: 5-line block ×16, first 2 shown]
	s_waitcnt lgkmcnt(1)
	;;#ASMSTART
	
             v_fmac_f32 v176, v212, v228 
             
	;;#ASMEND
	;;#ASMSTART
	
             v_fmac_f32 v177, v212, v229 
             
	;;#ASMEND
	;; [unrolled: 5-line block ×16, first 2 shown]
	ds_load_b128 v[212:215], v182 offset:11264
	s_waitcnt lgkmcnt(1)
	;;#ASMSTART
	
             v_fmac_f32 v144, v240, v224 
             
	;;#ASMEND
	;;#ASMSTART
	
             v_fmac_f32 v147, v240, v225 
             
	;;#ASMEND
	;; [unrolled: 5-line block ×16, first 2 shown]
	ds_load_b128 v[224:227], v183 offset:27648
	;;#ASMSTART
	
             v_fmac_f32 v134, v240, v228 
             
	;;#ASMEND
	;;#ASMSTART
	
             v_fmac_f32 v135, v240, v229 
             
	;;#ASMEND
	;; [unrolled: 5-line block ×16, first 2 shown]
	ds_load_b128 v[228:231], v183 offset:27904
	ds_load_b128 v[240:243], v182 offset:11520
	s_waitcnt lgkmcnt(2)
	;;#ASMSTART
	
             v_fmac_f32 v180, v212, v224 
             
	;;#ASMEND
	;;#ASMSTART
	
             v_fmac_f32 v181, v212, v225 
             
	;;#ASMEND
	;; [unrolled: 5-line block ×16, first 2 shown]
	s_waitcnt lgkmcnt(1)
	;;#ASMSTART
	
             v_fmac_f32 v176, v212, v228 
             
	;;#ASMEND
	;;#ASMSTART
	
             v_fmac_f32 v177, v212, v229 
             
	;;#ASMEND
	;; [unrolled: 5-line block ×16, first 2 shown]
	ds_load_b128 v[212:215], v182 offset:11776
	s_waitcnt lgkmcnt(1)
	;;#ASMSTART
	
             v_fmac_f32 v144, v240, v224 
             
	;;#ASMEND
	;;#ASMSTART
	
             v_fmac_f32 v147, v240, v225 
             
	;;#ASMEND
	;; [unrolled: 5-line block ×16, first 2 shown]
	ds_load_b128 v[224:227], v183 offset:28160
	;;#ASMSTART
	
             v_fmac_f32 v134, v240, v228 
             
	;;#ASMEND
	;;#ASMSTART
	
             v_fmac_f32 v135, v240, v229 
             
	;;#ASMEND
	;; [unrolled: 5-line block ×16, first 2 shown]
	ds_load_b128 v[228:231], v183 offset:28416
	ds_load_b128 v[240:243], v182 offset:12032
	s_waitcnt lgkmcnt(2)
	;;#ASMSTART
	
             v_fmac_f32 v180, v212, v224 
             
	;;#ASMEND
	;;#ASMSTART
	
             v_fmac_f32 v181, v212, v225 
             
	;;#ASMEND
	;; [unrolled: 5-line block ×16, first 2 shown]
	s_waitcnt lgkmcnt(1)
	;;#ASMSTART
	
             v_fmac_f32 v176, v212, v228 
             
	;;#ASMEND
	;;#ASMSTART
	
             v_fmac_f32 v177, v212, v229 
             
	;;#ASMEND
	;; [unrolled: 5-line block ×16, first 2 shown]
	ds_load_b128 v[212:215], v182 offset:12288
	s_waitcnt lgkmcnt(1)
	;;#ASMSTART
	
             v_fmac_f32 v144, v240, v224 
             
	;;#ASMEND
	;;#ASMSTART
	
             v_fmac_f32 v147, v240, v225 
             
	;;#ASMEND
	;; [unrolled: 5-line block ×16, first 2 shown]
	ds_load_b128 v[224:227], v183 offset:28672
	;;#ASMSTART
	
             v_fmac_f32 v134, v240, v228 
             
	;;#ASMEND
	;;#ASMSTART
	
             v_fmac_f32 v135, v240, v229 
             
	;;#ASMEND
	;;#ASMSTART
	
             v_fmac_f32 v132, v240, v230 
             
	;;#ASMEND
	;;#ASMSTART
	
             v_fmac_f32 v133, v240, v231 
             
	;;#ASMEND
	;;#ASMSTART
	
             v_fmac_f32 v98, v241, v228 
             
	;;#ASMEND
	;;#ASMSTART
	
             v_fmac_f32 v99, v241, v229 
             
	;;#ASMEND
	;;#ASMSTART
	
             v_fmac_f32 v96, v241, v230 
             
	;;#ASMEND
	;;#ASMSTART
	
             v_fmac_f32 v97, v241, v231 
             
	;;#ASMEND
	;;#ASMSTART
	
             v_fmac_f32 v114, v242, v228 
             
	;;#ASMEND
	;;#ASMSTART
	
             v_fmac_f32 v115, v242, v229 
             
	;;#ASMEND
	;;#ASMSTART
	
             v_fmac_f32 v112, v242, v230 
             
	;;#ASMEND
	;;#ASMSTART
	
             v_fmac_f32 v113, v242, v231 
             
	;;#ASMEND
	;;#ASMSTART
	
             v_fmac_f32 v130, v243, v228 
             
	;;#ASMEND
	;;#ASMSTART
	
             v_fmac_f32 v128, v243, v229 
             
	;;#ASMEND
	;;#ASMSTART
	
             v_fmac_f32 v129, v243, v230 
             
	;;#ASMEND
	;;#ASMSTART
	
             v_fmac_f32 v131, v243, v231 
             
	;;#ASMEND
	ds_load_b128 v[228:231], v183 offset:28928
	ds_load_b128 v[240:243], v182 offset:12544
	s_waitcnt lgkmcnt(2)
	;;#ASMSTART
	
             v_fmac_f32 v180, v212, v224 
             
	;;#ASMEND
	;;#ASMSTART
	
             v_fmac_f32 v181, v212, v225 
             
	;;#ASMEND
	;; [unrolled: 5-line block ×16, first 2 shown]
	s_waitcnt lgkmcnt(1)
	;;#ASMSTART
	
             v_fmac_f32 v176, v212, v228 
             
	;;#ASMEND
	;;#ASMSTART
	
             v_fmac_f32 v177, v212, v229 
             
	;;#ASMEND
	;;#ASMSTART
	
             v_fmac_f32 v166, v212, v230 
             
	;;#ASMEND
	;;#ASMSTART
	
             v_fmac_f32 v167, v212, v231 
             
	;;#ASMEND
	;;#ASMSTART
	
             v_fmac_f32 v83, v213, v228 
             
	;;#ASMEND
	;;#ASMSTART
	
             v_fmac_f32 v161, v213, v229 
             
	;;#ASMEND
	;;#ASMSTART
	
             v_fmac_f32 v81, v213, v230 
             
	;;#ASMEND
	;;#ASMSTART
	
             v_fmac_f32 v82, v213, v231 
             
	;;#ASMEND
	;;#ASMSTART
	
             v_fmac_f32 v5, v214, v228 
             
	;;#ASMEND
	;;#ASMSTART
	
             v_fmac_f32 v70, v214, v229 
             
	;;#ASMEND
	;;#ASMSTART
	
             v_fmac_f32 v68, v214, v230 
             
	;;#ASMEND
	;;#ASMSTART
	
             v_fmac_f32 v69, v214, v231 
             
	;;#ASMEND
	;;#ASMSTART
	
             v_fmac_f32 v87, v215, v228 
             
	;;#ASMEND
	;;#ASMSTART
	
             v_fmac_f32 v86, v215, v229 
             
	;;#ASMEND
	;;#ASMSTART
	
             v_fmac_f32 v84, v215, v230 
             
	;;#ASMEND
	;;#ASMSTART
	
             v_fmac_f32 v85, v215, v231 
             
	;;#ASMEND
	ds_load_b128 v[212:215], v182 offset:12800
	s_waitcnt lgkmcnt(1)
	;;#ASMSTART
	
             v_fmac_f32 v144, v240, v224 
             
	;;#ASMEND
	;;#ASMSTART
	
             v_fmac_f32 v147, v240, v225 
             
	;;#ASMEND
	;; [unrolled: 5-line block ×16, first 2 shown]
	ds_load_b128 v[224:227], v183 offset:29184
	;;#ASMSTART
	
             v_fmac_f32 v134, v240, v228 
             
	;;#ASMEND
	;;#ASMSTART
	
             v_fmac_f32 v135, v240, v229 
             
	;;#ASMEND
	;; [unrolled: 5-line block ×16, first 2 shown]
	ds_load_b128 v[228:231], v183 offset:29440
	ds_load_b128 v[240:243], v182 offset:13056
	s_waitcnt lgkmcnt(2)
	;;#ASMSTART
	
             v_fmac_f32 v180, v212, v224 
             
	;;#ASMEND
	;;#ASMSTART
	
             v_fmac_f32 v181, v212, v225 
             
	;;#ASMEND
	;; [unrolled: 5-line block ×16, first 2 shown]
	s_waitcnt lgkmcnt(1)
	;;#ASMSTART
	
             v_fmac_f32 v176, v212, v228 
             
	;;#ASMEND
	;;#ASMSTART
	
             v_fmac_f32 v177, v212, v229 
             
	;;#ASMEND
	;; [unrolled: 5-line block ×16, first 2 shown]
	ds_load_b128 v[212:215], v182 offset:13312
	s_waitcnt lgkmcnt(1)
	;;#ASMSTART
	
             v_fmac_f32 v144, v240, v224 
             
	;;#ASMEND
	;;#ASMSTART
	
             v_fmac_f32 v147, v240, v225 
             
	;;#ASMEND
	;; [unrolled: 5-line block ×16, first 2 shown]
	ds_load_b128 v[224:227], v183 offset:29696
	;;#ASMSTART
	
             v_fmac_f32 v134, v240, v228 
             
	;;#ASMEND
	;;#ASMSTART
	
             v_fmac_f32 v135, v240, v229 
             
	;;#ASMEND
	;; [unrolled: 5-line block ×16, first 2 shown]
	ds_load_b128 v[228:231], v183 offset:29952
	ds_load_b128 v[240:243], v182 offset:13568
	s_waitcnt lgkmcnt(2)
	;;#ASMSTART
	
             v_fmac_f32 v180, v212, v224 
             
	;;#ASMEND
	;;#ASMSTART
	
             v_fmac_f32 v181, v212, v225 
             
	;;#ASMEND
	;;#ASMSTART
	
             v_fmac_f32 v178, v212, v226 
             
	;;#ASMEND
	;;#ASMSTART
	
             v_fmac_f32 v179, v212, v227 
             
	;;#ASMEND
	;;#ASMSTART
	
             v_fmac_f32 v165, v213, v224 
             
	;;#ASMEND
	;;#ASMSTART
	
             v_fmac_f32 v164, v213, v225 
             
	;;#ASMEND
	;;#ASMSTART
	
             v_fmac_f32 v163, v213, v226 
             
	;;#ASMEND
	;;#ASMSTART
	
             v_fmac_f32 v162, v213, v227 
             
	;;#ASMEND
	;;#ASMSTART
	
             v_fmac_f32 v160, v214, v224 
             
	;;#ASMEND
	;;#ASMSTART
	
             v_fmac_f32 v55, v214, v225 
             
	;;#ASMEND
	;;#ASMSTART
	
             v_fmac_f32 v54, v214, v226 
             
	;;#ASMEND
	;;#ASMSTART
	
             v_fmac_f32 v53, v214, v227 
             
	;;#ASMEND
	;;#ASMSTART
	
             v_fmac_f32 v151, v215, v224 
             
	;;#ASMEND
	;;#ASMSTART
	
             v_fmac_f32 v150, v215, v225 
             
	;;#ASMEND
	;;#ASMSTART
	
             v_fmac_f32 v149, v215, v226 
             
	;;#ASMEND
	;;#ASMSTART
	
             v_fmac_f32 v148, v215, v227 
             
	;;#ASMEND
	s_waitcnt lgkmcnt(1)
	;;#ASMSTART
	
             v_fmac_f32 v176, v212, v228 
             
	;;#ASMEND
	;;#ASMSTART
	
             v_fmac_f32 v177, v212, v229 
             
	;;#ASMEND
	;; [unrolled: 5-line block ×16, first 2 shown]
	ds_load_b128 v[212:215], v182 offset:13824
	s_waitcnt lgkmcnt(1)
	;;#ASMSTART
	
             v_fmac_f32 v144, v240, v224 
             
	;;#ASMEND
	;;#ASMSTART
	
             v_fmac_f32 v147, v240, v225 
             
	;;#ASMEND
	;; [unrolled: 5-line block ×16, first 2 shown]
	ds_load_b128 v[224:227], v183 offset:30208
	;;#ASMSTART
	
             v_fmac_f32 v134, v240, v228 
             
	;;#ASMEND
	;;#ASMSTART
	
             v_fmac_f32 v135, v240, v229 
             
	;;#ASMEND
	;; [unrolled: 5-line block ×16, first 2 shown]
	ds_load_b128 v[228:231], v183 offset:30464
	ds_load_b128 v[240:243], v182 offset:14080
	s_waitcnt lgkmcnt(2)
	;;#ASMSTART
	
             v_fmac_f32 v180, v212, v224 
             
	;;#ASMEND
	;;#ASMSTART
	
             v_fmac_f32 v181, v212, v225 
             
	;;#ASMEND
	;; [unrolled: 5-line block ×16, first 2 shown]
	s_waitcnt lgkmcnt(1)
	;;#ASMSTART
	
             v_fmac_f32 v176, v212, v228 
             
	;;#ASMEND
	;;#ASMSTART
	
             v_fmac_f32 v177, v212, v229 
             
	;;#ASMEND
	;; [unrolled: 5-line block ×16, first 2 shown]
	ds_load_b128 v[212:215], v182 offset:14336
	s_waitcnt lgkmcnt(1)
	;;#ASMSTART
	
             v_fmac_f32 v144, v240, v224 
             
	;;#ASMEND
	;;#ASMSTART
	
             v_fmac_f32 v147, v240, v225 
             
	;;#ASMEND
	;; [unrolled: 5-line block ×16, first 2 shown]
	ds_load_b128 v[224:227], v183 offset:30720
	;;#ASMSTART
	
             v_fmac_f32 v134, v240, v228 
             
	;;#ASMEND
	;;#ASMSTART
	
             v_fmac_f32 v135, v240, v229 
             
	;;#ASMEND
	;; [unrolled: 5-line block ×16, first 2 shown]
	ds_load_b128 v[228:231], v183 offset:30976
	ds_load_b128 v[240:243], v182 offset:14592
	s_waitcnt lgkmcnt(2)
	;;#ASMSTART
	
             v_fmac_f32 v180, v212, v224 
             
	;;#ASMEND
	;;#ASMSTART
	
             v_fmac_f32 v181, v212, v225 
             
	;;#ASMEND
	;; [unrolled: 5-line block ×16, first 2 shown]
	s_waitcnt lgkmcnt(1)
	;;#ASMSTART
	
             v_fmac_f32 v176, v212, v228 
             
	;;#ASMEND
	;;#ASMSTART
	
             v_fmac_f32 v177, v212, v229 
             
	;;#ASMEND
	;; [unrolled: 5-line block ×16, first 2 shown]
	ds_load_b128 v[212:215], v182 offset:14848
	s_waitcnt lgkmcnt(1)
	;;#ASMSTART
	
             v_fmac_f32 v144, v240, v224 
             
	;;#ASMEND
	;;#ASMSTART
	
             v_fmac_f32 v147, v240, v225 
             
	;;#ASMEND
	;; [unrolled: 5-line block ×16, first 2 shown]
	ds_load_b128 v[224:227], v183 offset:31232
	;;#ASMSTART
	
             v_fmac_f32 v134, v240, v228 
             
	;;#ASMEND
	;;#ASMSTART
	
             v_fmac_f32 v135, v240, v229 
             
	;;#ASMEND
	;; [unrolled: 5-line block ×16, first 2 shown]
	ds_load_b128 v[228:231], v183 offset:31488
	ds_load_b128 v[240:243], v182 offset:15104
	s_waitcnt lgkmcnt(2)
	;;#ASMSTART
	
             v_fmac_f32 v180, v212, v224 
             
	;;#ASMEND
	;;#ASMSTART
	
             v_fmac_f32 v181, v212, v225 
             
	;;#ASMEND
	;; [unrolled: 5-line block ×16, first 2 shown]
	s_waitcnt lgkmcnt(1)
	;;#ASMSTART
	
             v_fmac_f32 v176, v212, v228 
             
	;;#ASMEND
	;;#ASMSTART
	
             v_fmac_f32 v177, v212, v229 
             
	;;#ASMEND
	;; [unrolled: 5-line block ×16, first 2 shown]
	ds_load_b128 v[212:215], v182 offset:15360
	s_waitcnt lgkmcnt(1)
	;;#ASMSTART
	
             v_fmac_f32 v144, v240, v224 
             
	;;#ASMEND
	;;#ASMSTART
	
             v_fmac_f32 v147, v240, v225 
             
	;;#ASMEND
	;; [unrolled: 5-line block ×16, first 2 shown]
	ds_load_b128 v[224:227], v183 offset:31744
	;;#ASMSTART
	
             v_fmac_f32 v134, v240, v228 
             
	;;#ASMEND
	;;#ASMSTART
	
             v_fmac_f32 v135, v240, v229 
             
	;;#ASMEND
	;; [unrolled: 5-line block ×16, first 2 shown]
	ds_load_b128 v[228:231], v183 offset:32000
	ds_load_b128 v[240:243], v182 offset:15616
	s_waitcnt lgkmcnt(2)
	;;#ASMSTART
	
             v_fmac_f32 v180, v212, v224 
             
	;;#ASMEND
	;;#ASMSTART
	
             v_fmac_f32 v181, v212, v225 
             
	;;#ASMEND
	;; [unrolled: 5-line block ×16, first 2 shown]
	s_waitcnt lgkmcnt(1)
	;;#ASMSTART
	
             v_fmac_f32 v176, v212, v228 
             
	;;#ASMEND
	;;#ASMSTART
	
             v_fmac_f32 v177, v212, v229 
             
	;;#ASMEND
	;; [unrolled: 5-line block ×16, first 2 shown]
	ds_load_b128 v[212:215], v182 offset:15872
	s_waitcnt lgkmcnt(1)
	;;#ASMSTART
	
             v_fmac_f32 v144, v240, v224 
             
	;;#ASMEND
	;;#ASMSTART
	
             v_fmac_f32 v147, v240, v225 
             
	;;#ASMEND
	;; [unrolled: 5-line block ×16, first 2 shown]
	ds_load_b128 v[224:227], v183 offset:32256
	;;#ASMSTART
	
             v_fmac_f32 v134, v240, v228 
             
	;;#ASMEND
	;;#ASMSTART
	
             v_fmac_f32 v135, v240, v229 
             
	;;#ASMEND
	;; [unrolled: 5-line block ×8, first 2 shown]
	v_dual_cndmask_b32 v240, 0, v21 :: v_dual_cndmask_b32 v241, 0, v20
	v_cmp_ge_i32_e32 vcc_lo, s11, v198
	;;#ASMSTART
	
             v_fmac_f32 v114, v242, v228 
             
	;;#ASMEND
	;;#ASMSTART
	
             v_fmac_f32 v115, v242, v229 
             
	;;#ASMEND
	;; [unrolled: 5-line block ×4, first 2 shown]
	s_or_b32 s10, vcc_lo, s10
	;;#ASMSTART
	
             v_fmac_f32 v130, v243, v228 
             
	;;#ASMEND
	;;#ASMSTART
	
             v_fmac_f32 v128, v243, v229 
             
	;;#ASMEND
	;; [unrolled: 5-line block ×4, first 2 shown]
	ds_load_b128 v[228:231], v183 offset:32512
	ds_load_b128 v[20:23], v182 offset:16128
	s_waitcnt lgkmcnt(2)
	;;#ASMSTART
	
             v_fmac_f32 v180, v212, v224 
             
	;;#ASMEND
	;;#ASMSTART
	
             v_fmac_f32 v181, v212, v225 
             
	;;#ASMEND
	;; [unrolled: 5-line block ×16, first 2 shown]
	s_waitcnt lgkmcnt(1)
	;;#ASMSTART
	
             v_fmac_f32 v176, v212, v228 
             
	;;#ASMEND
	;;#ASMSTART
	
             v_fmac_f32 v177, v212, v229 
             
	;;#ASMEND
	;; [unrolled: 5-line block ×16, first 2 shown]
	s_waitcnt lgkmcnt(0)
	;;#ASMSTART
	
             v_fmac_f32 v144, v20, v224 
             
	;;#ASMEND
	;;#ASMSTART
	
             v_fmac_f32 v147, v20, v225 
             
	;;#ASMEND
	;; [unrolled: 5-line block ×32, first 2 shown]
	ds_store_2addr_stride64_b32 v194, v35, v31 offset1:2
	ds_store_2addr_stride64_b32 v194, v34, v33 offset0:4 offset1:6
	ds_store_2addr_stride64_b32 v194, v39, v38 offset0:8 offset1:10
	ds_store_2addr_stride64_b32 v194, v37, v36 offset0:12 offset1:14
	ds_store_2addr_stride64_b32 v195, v211, v49 offset0:2 offset1:4
	ds_store_2addr_stride64_b32 v195, v48, v241 offset0:6 offset1:8
	ds_store_2addr_stride64_b32 v195, v240, v245 offset0:10 offset1:12
	ds_store_b32 v194, v50 offset:16384
	ds_store_b32 v195, v244 offset:3584
	s_and_not1_b32 exec_lo, exec_lo, s10
	s_cbranch_execnz .LBB15_9
; %bb.26:
	s_or_b32 exec_lo, exec_lo, s10
	s_waitcnt lgkmcnt(0)
	s_barrier
	buffer_gl0_inv
	ds_load_b128 v[0:3], v182
	ds_load_b128 v[8:11], v183 offset:16384
	ds_load_b128 v[20:23], v183 offset:16640
	;; [unrolled: 1-line block ×3, first 2 shown]
	v_lshl_add_u32 v38, s9, 7, v71
	s_waitcnt lgkmcnt(2)
	;;#ASMSTART
	
             v_fmac_f32 v180, v0, v8 
             
	;;#ASMEND
	;;#ASMSTART
	
             v_fmac_f32 v181, v0, v9 
             
	;;#ASMEND
	;; [unrolled: 5-line block ×16, first 2 shown]
	s_waitcnt lgkmcnt(1)
	;;#ASMSTART
	
             v_fmac_f32 v176, v0, v20 
             
	;;#ASMEND
	;;#ASMSTART
	
             v_fmac_f32 v177, v0, v21 
             
	;;#ASMEND
	;; [unrolled: 5-line block ×16, first 2 shown]
	ds_load_b128 v[0:3], v182 offset:512
	s_waitcnt lgkmcnt(1)
	;;#ASMSTART
	
             v_fmac_f32 v144, v24, v8 
             
	;;#ASMEND
	;;#ASMSTART
	
             v_fmac_f32 v147, v24, v9 
             
	;;#ASMEND
	;; [unrolled: 5-line block ×16, first 2 shown]
	ds_load_b128 v[8:11], v183 offset:16896
	;;#ASMSTART
	
             v_fmac_f32 v134, v24, v20 
             
	;;#ASMEND
	;;#ASMSTART
	
             v_fmac_f32 v135, v24, v21 
             
	;;#ASMEND
	;;#ASMSTART
	
             v_fmac_f32 v132, v24, v22 
             
	;;#ASMEND
	;;#ASMSTART
	
             v_fmac_f32 v133, v24, v23 
             
	;;#ASMEND
	;;#ASMSTART
	
             v_fmac_f32 v98, v25, v20 
             
	;;#ASMEND
	;;#ASMSTART
	
             v_fmac_f32 v99, v25, v21 
             
	;;#ASMEND
	;;#ASMSTART
	
             v_fmac_f32 v96, v25, v22 
             
	;;#ASMEND
	;;#ASMSTART
	
             v_fmac_f32 v97, v25, v23 
             
	;;#ASMEND
	;;#ASMSTART
	
             v_fmac_f32 v114, v26, v20 
             
	;;#ASMEND
	;;#ASMSTART
	
             v_fmac_f32 v115, v26, v21 
             
	;;#ASMEND
	;;#ASMSTART
	
             v_fmac_f32 v112, v26, v22 
             
	;;#ASMEND
	;;#ASMSTART
	
             v_fmac_f32 v113, v26, v23 
             
	;;#ASMEND
	;;#ASMSTART
	
             v_fmac_f32 v130, v27, v20 
             
	;;#ASMEND
	;;#ASMSTART
	
             v_fmac_f32 v128, v27, v21 
             
	;;#ASMEND
	;;#ASMSTART
	
             v_fmac_f32 v129, v27, v22 
             
	;;#ASMEND
	;;#ASMSTART
	
             v_fmac_f32 v131, v27, v23 
             
	;;#ASMEND
	ds_load_b128 v[20:23], v183 offset:17152
	ds_load_b128 v[24:27], v182 offset:768
	s_waitcnt lgkmcnt(2)
	;;#ASMSTART
	
             v_fmac_f32 v180, v0, v8 
             
	;;#ASMEND
	;;#ASMSTART
	
             v_fmac_f32 v181, v0, v9 
             
	;;#ASMEND
	;; [unrolled: 5-line block ×16, first 2 shown]
	s_waitcnt lgkmcnt(1)
	;;#ASMSTART
	
             v_fmac_f32 v176, v0, v20 
             
	;;#ASMEND
	;;#ASMSTART
	
             v_fmac_f32 v177, v0, v21 
             
	;;#ASMEND
	;; [unrolled: 5-line block ×16, first 2 shown]
	ds_load_b128 v[0:3], v182 offset:1024
	s_waitcnt lgkmcnt(1)
	;;#ASMSTART
	
             v_fmac_f32 v144, v24, v8 
             
	;;#ASMEND
	;;#ASMSTART
	
             v_fmac_f32 v147, v24, v9 
             
	;;#ASMEND
	;; [unrolled: 5-line block ×16, first 2 shown]
	ds_load_b128 v[8:11], v183 offset:17408
	;;#ASMSTART
	
             v_fmac_f32 v134, v24, v20 
             
	;;#ASMEND
	;;#ASMSTART
	
             v_fmac_f32 v135, v24, v21 
             
	;;#ASMEND
	;;#ASMSTART
	
             v_fmac_f32 v132, v24, v22 
             
	;;#ASMEND
	;;#ASMSTART
	
             v_fmac_f32 v133, v24, v23 
             
	;;#ASMEND
	;;#ASMSTART
	
             v_fmac_f32 v98, v25, v20 
             
	;;#ASMEND
	;;#ASMSTART
	
             v_fmac_f32 v99, v25, v21 
             
	;;#ASMEND
	;;#ASMSTART
	
             v_fmac_f32 v96, v25, v22 
             
	;;#ASMEND
	;;#ASMSTART
	
             v_fmac_f32 v97, v25, v23 
             
	;;#ASMEND
	;;#ASMSTART
	
             v_fmac_f32 v114, v26, v20 
             
	;;#ASMEND
	;;#ASMSTART
	
             v_fmac_f32 v115, v26, v21 
             
	;;#ASMEND
	;;#ASMSTART
	
             v_fmac_f32 v112, v26, v22 
             
	;;#ASMEND
	;;#ASMSTART
	
             v_fmac_f32 v113, v26, v23 
             
	;;#ASMEND
	;;#ASMSTART
	
             v_fmac_f32 v130, v27, v20 
             
	;;#ASMEND
	;;#ASMSTART
	
             v_fmac_f32 v128, v27, v21 
             
	;;#ASMEND
	;;#ASMSTART
	
             v_fmac_f32 v129, v27, v22 
             
	;;#ASMEND
	;;#ASMSTART
	
             v_fmac_f32 v131, v27, v23 
             
	;;#ASMEND
	ds_load_b128 v[20:23], v183 offset:17664
	ds_load_b128 v[24:27], v182 offset:1280
	s_waitcnt lgkmcnt(2)
	;;#ASMSTART
	
             v_fmac_f32 v180, v0, v8 
             
	;;#ASMEND
	;;#ASMSTART
	
             v_fmac_f32 v181, v0, v9 
             
	;;#ASMEND
	;; [unrolled: 5-line block ×16, first 2 shown]
	s_waitcnt lgkmcnt(1)
	;;#ASMSTART
	
             v_fmac_f32 v176, v0, v20 
             
	;;#ASMEND
	;;#ASMSTART
	
             v_fmac_f32 v177, v0, v21 
             
	;;#ASMEND
	;; [unrolled: 5-line block ×16, first 2 shown]
	ds_load_b128 v[0:3], v182 offset:1536
	s_waitcnt lgkmcnt(1)
	;;#ASMSTART
	
             v_fmac_f32 v144, v24, v8 
             
	;;#ASMEND
	;;#ASMSTART
	
             v_fmac_f32 v147, v24, v9 
             
	;;#ASMEND
	;; [unrolled: 5-line block ×16, first 2 shown]
	ds_load_b128 v[8:11], v183 offset:17920
	;;#ASMSTART
	
             v_fmac_f32 v134, v24, v20 
             
	;;#ASMEND
	;;#ASMSTART
	
             v_fmac_f32 v135, v24, v21 
             
	;;#ASMEND
	;; [unrolled: 5-line block ×16, first 2 shown]
	ds_load_b128 v[20:23], v183 offset:18176
	ds_load_b128 v[24:27], v182 offset:1792
	s_waitcnt lgkmcnt(2)
	;;#ASMSTART
	
             v_fmac_f32 v180, v0, v8 
             
	;;#ASMEND
	;;#ASMSTART
	
             v_fmac_f32 v181, v0, v9 
             
	;;#ASMEND
	;; [unrolled: 5-line block ×16, first 2 shown]
	s_waitcnt lgkmcnt(1)
	;;#ASMSTART
	
             v_fmac_f32 v176, v0, v20 
             
	;;#ASMEND
	;;#ASMSTART
	
             v_fmac_f32 v177, v0, v21 
             
	;;#ASMEND
	;; [unrolled: 5-line block ×16, first 2 shown]
	ds_load_b128 v[0:3], v182 offset:2048
	s_waitcnt lgkmcnt(1)
	;;#ASMSTART
	
             v_fmac_f32 v144, v24, v8 
             
	;;#ASMEND
	;;#ASMSTART
	
             v_fmac_f32 v147, v24, v9 
             
	;;#ASMEND
	;; [unrolled: 5-line block ×16, first 2 shown]
	ds_load_b128 v[8:11], v183 offset:18432
	;;#ASMSTART
	
             v_fmac_f32 v134, v24, v20 
             
	;;#ASMEND
	;;#ASMSTART
	
             v_fmac_f32 v135, v24, v21 
             
	;;#ASMEND
	;; [unrolled: 5-line block ×16, first 2 shown]
	ds_load_b128 v[20:23], v183 offset:18688
	ds_load_b128 v[24:27], v182 offset:2304
	s_waitcnt lgkmcnt(2)
	;;#ASMSTART
	
             v_fmac_f32 v180, v0, v8 
             
	;;#ASMEND
	;;#ASMSTART
	
             v_fmac_f32 v181, v0, v9 
             
	;;#ASMEND
	;; [unrolled: 5-line block ×16, first 2 shown]
	s_waitcnt lgkmcnt(1)
	;;#ASMSTART
	
             v_fmac_f32 v176, v0, v20 
             
	;;#ASMEND
	;;#ASMSTART
	
             v_fmac_f32 v177, v0, v21 
             
	;;#ASMEND
	;; [unrolled: 5-line block ×16, first 2 shown]
	ds_load_b128 v[0:3], v182 offset:2560
	s_waitcnt lgkmcnt(1)
	;;#ASMSTART
	
             v_fmac_f32 v144, v24, v8 
             
	;;#ASMEND
	;;#ASMSTART
	
             v_fmac_f32 v147, v24, v9 
             
	;;#ASMEND
	;; [unrolled: 5-line block ×16, first 2 shown]
	ds_load_b128 v[8:11], v183 offset:18944
	;;#ASMSTART
	
             v_fmac_f32 v134, v24, v20 
             
	;;#ASMEND
	;;#ASMSTART
	
             v_fmac_f32 v135, v24, v21 
             
	;;#ASMEND
	;; [unrolled: 5-line block ×16, first 2 shown]
	ds_load_b128 v[20:23], v183 offset:19200
	ds_load_b128 v[24:27], v182 offset:2816
	s_waitcnt lgkmcnt(2)
	;;#ASMSTART
	
             v_fmac_f32 v180, v0, v8 
             
	;;#ASMEND
	;;#ASMSTART
	
             v_fmac_f32 v181, v0, v9 
             
	;;#ASMEND
	;; [unrolled: 5-line block ×16, first 2 shown]
	s_waitcnt lgkmcnt(1)
	;;#ASMSTART
	
             v_fmac_f32 v176, v0, v20 
             
	;;#ASMEND
	;;#ASMSTART
	
             v_fmac_f32 v177, v0, v21 
             
	;;#ASMEND
	;; [unrolled: 5-line block ×16, first 2 shown]
	ds_load_b128 v[0:3], v182 offset:3072
	s_waitcnt lgkmcnt(1)
	;;#ASMSTART
	
             v_fmac_f32 v144, v24, v8 
             
	;;#ASMEND
	;;#ASMSTART
	
             v_fmac_f32 v147, v24, v9 
             
	;;#ASMEND
	;; [unrolled: 5-line block ×16, first 2 shown]
	ds_load_b128 v[8:11], v183 offset:19456
	;;#ASMSTART
	
             v_fmac_f32 v134, v24, v20 
             
	;;#ASMEND
	;;#ASMSTART
	
             v_fmac_f32 v135, v24, v21 
             
	;;#ASMEND
	;; [unrolled: 5-line block ×16, first 2 shown]
	ds_load_b128 v[20:23], v183 offset:19712
	ds_load_b128 v[24:27], v182 offset:3328
	s_waitcnt lgkmcnt(2)
	;;#ASMSTART
	
             v_fmac_f32 v180, v0, v8 
             
	;;#ASMEND
	;;#ASMSTART
	
             v_fmac_f32 v181, v0, v9 
             
	;;#ASMEND
	;; [unrolled: 5-line block ×16, first 2 shown]
	s_waitcnt lgkmcnt(1)
	;;#ASMSTART
	
             v_fmac_f32 v176, v0, v20 
             
	;;#ASMEND
	;;#ASMSTART
	
             v_fmac_f32 v177, v0, v21 
             
	;;#ASMEND
	;; [unrolled: 5-line block ×16, first 2 shown]
	ds_load_b128 v[0:3], v182 offset:3584
	s_waitcnt lgkmcnt(1)
	;;#ASMSTART
	
             v_fmac_f32 v144, v24, v8 
             
	;;#ASMEND
	;;#ASMSTART
	
             v_fmac_f32 v147, v24, v9 
             
	;;#ASMEND
	;; [unrolled: 5-line block ×16, first 2 shown]
	ds_load_b128 v[8:11], v183 offset:19968
	;;#ASMSTART
	
             v_fmac_f32 v134, v24, v20 
             
	;;#ASMEND
	;;#ASMSTART
	
             v_fmac_f32 v135, v24, v21 
             
	;;#ASMEND
	;; [unrolled: 5-line block ×16, first 2 shown]
	ds_load_b128 v[20:23], v183 offset:20224
	ds_load_b128 v[24:27], v182 offset:3840
	s_waitcnt lgkmcnt(2)
	;;#ASMSTART
	
             v_fmac_f32 v180, v0, v8 
             
	;;#ASMEND
	;;#ASMSTART
	
             v_fmac_f32 v181, v0, v9 
             
	;;#ASMEND
	;; [unrolled: 5-line block ×16, first 2 shown]
	s_waitcnt lgkmcnt(1)
	;;#ASMSTART
	
             v_fmac_f32 v176, v0, v20 
             
	;;#ASMEND
	;;#ASMSTART
	
             v_fmac_f32 v177, v0, v21 
             
	;;#ASMEND
	;; [unrolled: 5-line block ×16, first 2 shown]
	ds_load_b128 v[0:3], v182 offset:4096
	s_waitcnt lgkmcnt(1)
	;;#ASMSTART
	
             v_fmac_f32 v144, v24, v8 
             
	;;#ASMEND
	;;#ASMSTART
	
             v_fmac_f32 v147, v24, v9 
             
	;;#ASMEND
	;; [unrolled: 5-line block ×16, first 2 shown]
	ds_load_b128 v[8:11], v183 offset:20480
	;;#ASMSTART
	
             v_fmac_f32 v134, v24, v20 
             
	;;#ASMEND
	;;#ASMSTART
	
             v_fmac_f32 v135, v24, v21 
             
	;;#ASMEND
	;;#ASMSTART
	
             v_fmac_f32 v132, v24, v22 
             
	;;#ASMEND
	;;#ASMSTART
	
             v_fmac_f32 v133, v24, v23 
             
	;;#ASMEND
	;;#ASMSTART
	
             v_fmac_f32 v98, v25, v20 
             
	;;#ASMEND
	;;#ASMSTART
	
             v_fmac_f32 v99, v25, v21 
             
	;;#ASMEND
	;;#ASMSTART
	
             v_fmac_f32 v96, v25, v22 
             
	;;#ASMEND
	;;#ASMSTART
	
             v_fmac_f32 v97, v25, v23 
             
	;;#ASMEND
	;;#ASMSTART
	
             v_fmac_f32 v114, v26, v20 
             
	;;#ASMEND
	;;#ASMSTART
	
             v_fmac_f32 v115, v26, v21 
             
	;;#ASMEND
	;;#ASMSTART
	
             v_fmac_f32 v112, v26, v22 
             
	;;#ASMEND
	;;#ASMSTART
	
             v_fmac_f32 v113, v26, v23 
             
	;;#ASMEND
	;;#ASMSTART
	
             v_fmac_f32 v130, v27, v20 
             
	;;#ASMEND
	;;#ASMSTART
	
             v_fmac_f32 v128, v27, v21 
             
	;;#ASMEND
	;;#ASMSTART
	
             v_fmac_f32 v129, v27, v22 
             
	;;#ASMEND
	;;#ASMSTART
	
             v_fmac_f32 v131, v27, v23 
             
	;;#ASMEND
	ds_load_b128 v[20:23], v183 offset:20736
	ds_load_b128 v[24:27], v182 offset:4352
	s_waitcnt lgkmcnt(2)
	;;#ASMSTART
	
             v_fmac_f32 v180, v0, v8 
             
	;;#ASMEND
	;;#ASMSTART
	
             v_fmac_f32 v181, v0, v9 
             
	;;#ASMEND
	;; [unrolled: 5-line block ×16, first 2 shown]
	s_waitcnt lgkmcnt(1)
	;;#ASMSTART
	
             v_fmac_f32 v176, v0, v20 
             
	;;#ASMEND
	;;#ASMSTART
	
             v_fmac_f32 v177, v0, v21 
             
	;;#ASMEND
	;; [unrolled: 5-line block ×16, first 2 shown]
	ds_load_b128 v[0:3], v182 offset:4608
	s_waitcnt lgkmcnt(1)
	;;#ASMSTART
	
             v_fmac_f32 v144, v24, v8 
             
	;;#ASMEND
	;;#ASMSTART
	
             v_fmac_f32 v147, v24, v9 
             
	;;#ASMEND
	;; [unrolled: 5-line block ×16, first 2 shown]
	ds_load_b128 v[8:11], v183 offset:20992
	;;#ASMSTART
	
             v_fmac_f32 v134, v24, v20 
             
	;;#ASMEND
	;;#ASMSTART
	
             v_fmac_f32 v135, v24, v21 
             
	;;#ASMEND
	;; [unrolled: 5-line block ×16, first 2 shown]
	ds_load_b128 v[20:23], v183 offset:21248
	ds_load_b128 v[24:27], v182 offset:4864
	s_waitcnt lgkmcnt(2)
	;;#ASMSTART
	
             v_fmac_f32 v180, v0, v8 
             
	;;#ASMEND
	;;#ASMSTART
	
             v_fmac_f32 v181, v0, v9 
             
	;;#ASMEND
	;; [unrolled: 5-line block ×16, first 2 shown]
	s_waitcnt lgkmcnt(1)
	;;#ASMSTART
	
             v_fmac_f32 v176, v0, v20 
             
	;;#ASMEND
	;;#ASMSTART
	
             v_fmac_f32 v177, v0, v21 
             
	;;#ASMEND
	;;#ASMSTART
	
             v_fmac_f32 v166, v0, v22 
             
	;;#ASMEND
	;;#ASMSTART
	
             v_fmac_f32 v167, v0, v23 
             
	;;#ASMEND
	;;#ASMSTART
	
             v_fmac_f32 v83, v1, v20 
             
	;;#ASMEND
	;;#ASMSTART
	
             v_fmac_f32 v161, v1, v21 
             
	;;#ASMEND
	;;#ASMSTART
	
             v_fmac_f32 v81, v1, v22 
             
	;;#ASMEND
	;;#ASMSTART
	
             v_fmac_f32 v82, v1, v23 
             
	;;#ASMEND
	;;#ASMSTART
	
             v_fmac_f32 v5, v2, v20 
             
	;;#ASMEND
	;;#ASMSTART
	
             v_fmac_f32 v70, v2, v21 
             
	;;#ASMEND
	;;#ASMSTART
	
             v_fmac_f32 v68, v2, v22 
             
	;;#ASMEND
	;;#ASMSTART
	
             v_fmac_f32 v69, v2, v23 
             
	;;#ASMEND
	;;#ASMSTART
	
             v_fmac_f32 v87, v3, v20 
             
	;;#ASMEND
	;;#ASMSTART
	
             v_fmac_f32 v86, v3, v21 
             
	;;#ASMEND
	;;#ASMSTART
	
             v_fmac_f32 v84, v3, v22 
             
	;;#ASMEND
	;;#ASMSTART
	
             v_fmac_f32 v85, v3, v23 
             
	;;#ASMEND
	ds_load_b128 v[0:3], v182 offset:5120
	s_waitcnt lgkmcnt(1)
	;;#ASMSTART
	
             v_fmac_f32 v144, v24, v8 
             
	;;#ASMEND
	;;#ASMSTART
	
             v_fmac_f32 v147, v24, v9 
             
	;;#ASMEND
	;; [unrolled: 5-line block ×16, first 2 shown]
	ds_load_b128 v[8:11], v183 offset:21504
	;;#ASMSTART
	
             v_fmac_f32 v134, v24, v20 
             
	;;#ASMEND
	;;#ASMSTART
	
             v_fmac_f32 v135, v24, v21 
             
	;;#ASMEND
	;;#ASMSTART
	
             v_fmac_f32 v132, v24, v22 
             
	;;#ASMEND
	;;#ASMSTART
	
             v_fmac_f32 v133, v24, v23 
             
	;;#ASMEND
	;;#ASMSTART
	
             v_fmac_f32 v98, v25, v20 
             
	;;#ASMEND
	;;#ASMSTART
	
             v_fmac_f32 v99, v25, v21 
             
	;;#ASMEND
	;;#ASMSTART
	
             v_fmac_f32 v96, v25, v22 
             
	;;#ASMEND
	;;#ASMSTART
	
             v_fmac_f32 v97, v25, v23 
             
	;;#ASMEND
	;;#ASMSTART
	
             v_fmac_f32 v114, v26, v20 
             
	;;#ASMEND
	;;#ASMSTART
	
             v_fmac_f32 v115, v26, v21 
             
	;;#ASMEND
	;;#ASMSTART
	
             v_fmac_f32 v112, v26, v22 
             
	;;#ASMEND
	;;#ASMSTART
	
             v_fmac_f32 v113, v26, v23 
             
	;;#ASMEND
	;;#ASMSTART
	
             v_fmac_f32 v130, v27, v20 
             
	;;#ASMEND
	;;#ASMSTART
	
             v_fmac_f32 v128, v27, v21 
             
	;;#ASMEND
	;;#ASMSTART
	
             v_fmac_f32 v129, v27, v22 
             
	;;#ASMEND
	;;#ASMSTART
	
             v_fmac_f32 v131, v27, v23 
             
	;;#ASMEND
	ds_load_b128 v[20:23], v183 offset:21760
	ds_load_b128 v[24:27], v182 offset:5376
	s_waitcnt lgkmcnt(2)
	;;#ASMSTART
	
             v_fmac_f32 v180, v0, v8 
             
	;;#ASMEND
	;;#ASMSTART
	
             v_fmac_f32 v181, v0, v9 
             
	;;#ASMEND
	;; [unrolled: 5-line block ×16, first 2 shown]
	s_waitcnt lgkmcnt(1)
	;;#ASMSTART
	
             v_fmac_f32 v176, v0, v20 
             
	;;#ASMEND
	;;#ASMSTART
	
             v_fmac_f32 v177, v0, v21 
             
	;;#ASMEND
	;; [unrolled: 5-line block ×16, first 2 shown]
	ds_load_b128 v[0:3], v182 offset:5632
	s_waitcnt lgkmcnt(1)
	;;#ASMSTART
	
             v_fmac_f32 v144, v24, v8 
             
	;;#ASMEND
	;;#ASMSTART
	
             v_fmac_f32 v147, v24, v9 
             
	;;#ASMEND
	;; [unrolled: 5-line block ×16, first 2 shown]
	ds_load_b128 v[8:11], v183 offset:22016
	;;#ASMSTART
	
             v_fmac_f32 v134, v24, v20 
             
	;;#ASMEND
	;;#ASMSTART
	
             v_fmac_f32 v135, v24, v21 
             
	;;#ASMEND
	;; [unrolled: 5-line block ×16, first 2 shown]
	ds_load_b128 v[20:23], v183 offset:22272
	ds_load_b128 v[24:27], v182 offset:5888
	s_waitcnt lgkmcnt(2)
	;;#ASMSTART
	
             v_fmac_f32 v180, v0, v8 
             
	;;#ASMEND
	;;#ASMSTART
	
             v_fmac_f32 v181, v0, v9 
             
	;;#ASMEND
	;; [unrolled: 5-line block ×16, first 2 shown]
	s_waitcnt lgkmcnt(1)
	;;#ASMSTART
	
             v_fmac_f32 v176, v0, v20 
             
	;;#ASMEND
	;;#ASMSTART
	
             v_fmac_f32 v177, v0, v21 
             
	;;#ASMEND
	;; [unrolled: 5-line block ×16, first 2 shown]
	ds_load_b128 v[0:3], v182 offset:6144
	s_waitcnt lgkmcnt(1)
	;;#ASMSTART
	
             v_fmac_f32 v144, v24, v8 
             
	;;#ASMEND
	;;#ASMSTART
	
             v_fmac_f32 v147, v24, v9 
             
	;;#ASMEND
	;; [unrolled: 5-line block ×16, first 2 shown]
	ds_load_b128 v[8:11], v183 offset:22528
	;;#ASMSTART
	
             v_fmac_f32 v134, v24, v20 
             
	;;#ASMEND
	;;#ASMSTART
	
             v_fmac_f32 v135, v24, v21 
             
	;;#ASMEND
	;; [unrolled: 5-line block ×16, first 2 shown]
	ds_load_b128 v[20:23], v183 offset:22784
	ds_load_b128 v[24:27], v182 offset:6400
	s_waitcnt lgkmcnt(2)
	;;#ASMSTART
	
             v_fmac_f32 v180, v0, v8 
             
	;;#ASMEND
	;;#ASMSTART
	
             v_fmac_f32 v181, v0, v9 
             
	;;#ASMEND
	;;#ASMSTART
	
             v_fmac_f32 v178, v0, v10 
             
	;;#ASMEND
	;;#ASMSTART
	
             v_fmac_f32 v179, v0, v11 
             
	;;#ASMEND
	;;#ASMSTART
	
             v_fmac_f32 v165, v1, v8 
             
	;;#ASMEND
	;;#ASMSTART
	
             v_fmac_f32 v164, v1, v9 
             
	;;#ASMEND
	;;#ASMSTART
	
             v_fmac_f32 v163, v1, v10 
             
	;;#ASMEND
	;;#ASMSTART
	
             v_fmac_f32 v162, v1, v11 
             
	;;#ASMEND
	;;#ASMSTART
	
             v_fmac_f32 v160, v2, v8 
             
	;;#ASMEND
	;;#ASMSTART
	
             v_fmac_f32 v55, v2, v9 
             
	;;#ASMEND
	;;#ASMSTART
	
             v_fmac_f32 v54, v2, v10 
             
	;;#ASMEND
	;;#ASMSTART
	
             v_fmac_f32 v53, v2, v11 
             
	;;#ASMEND
	;;#ASMSTART
	
             v_fmac_f32 v151, v3, v8 
             
	;;#ASMEND
	;;#ASMSTART
	
             v_fmac_f32 v150, v3, v9 
             
	;;#ASMEND
	;;#ASMSTART
	
             v_fmac_f32 v149, v3, v10 
             
	;;#ASMEND
	;;#ASMSTART
	
             v_fmac_f32 v148, v3, v11 
             
	;;#ASMEND
	s_waitcnt lgkmcnt(1)
	;;#ASMSTART
	
             v_fmac_f32 v176, v0, v20 
             
	;;#ASMEND
	;;#ASMSTART
	
             v_fmac_f32 v177, v0, v21 
             
	;;#ASMEND
	;; [unrolled: 5-line block ×16, first 2 shown]
	ds_load_b128 v[0:3], v182 offset:6656
	s_waitcnt lgkmcnt(1)
	;;#ASMSTART
	
             v_fmac_f32 v144, v24, v8 
             
	;;#ASMEND
	;;#ASMSTART
	
             v_fmac_f32 v147, v24, v9 
             
	;;#ASMEND
	;; [unrolled: 5-line block ×16, first 2 shown]
	ds_load_b128 v[8:11], v183 offset:23040
	;;#ASMSTART
	
             v_fmac_f32 v134, v24, v20 
             
	;;#ASMEND
	;;#ASMSTART
	
             v_fmac_f32 v135, v24, v21 
             
	;;#ASMEND
	;; [unrolled: 5-line block ×16, first 2 shown]
	ds_load_b128 v[20:23], v183 offset:23296
	ds_load_b128 v[24:27], v182 offset:6912
	s_waitcnt lgkmcnt(2)
	;;#ASMSTART
	
             v_fmac_f32 v180, v0, v8 
             
	;;#ASMEND
	;;#ASMSTART
	
             v_fmac_f32 v181, v0, v9 
             
	;;#ASMEND
	;; [unrolled: 5-line block ×16, first 2 shown]
	s_waitcnt lgkmcnt(1)
	;;#ASMSTART
	
             v_fmac_f32 v176, v0, v20 
             
	;;#ASMEND
	;;#ASMSTART
	
             v_fmac_f32 v177, v0, v21 
             
	;;#ASMEND
	;; [unrolled: 5-line block ×16, first 2 shown]
	ds_load_b128 v[0:3], v182 offset:7168
	s_waitcnt lgkmcnt(1)
	;;#ASMSTART
	
             v_fmac_f32 v144, v24, v8 
             
	;;#ASMEND
	;;#ASMSTART
	
             v_fmac_f32 v147, v24, v9 
             
	;;#ASMEND
	;; [unrolled: 5-line block ×16, first 2 shown]
	ds_load_b128 v[8:11], v183 offset:23552
	;;#ASMSTART
	
             v_fmac_f32 v134, v24, v20 
             
	;;#ASMEND
	;;#ASMSTART
	
             v_fmac_f32 v135, v24, v21 
             
	;;#ASMEND
	;; [unrolled: 5-line block ×16, first 2 shown]
	ds_load_b128 v[20:23], v183 offset:23808
	ds_load_b128 v[24:27], v182 offset:7424
	s_waitcnt lgkmcnt(2)
	;;#ASMSTART
	
             v_fmac_f32 v180, v0, v8 
             
	;;#ASMEND
	;;#ASMSTART
	
             v_fmac_f32 v181, v0, v9 
             
	;;#ASMEND
	;; [unrolled: 5-line block ×16, first 2 shown]
	s_waitcnt lgkmcnt(1)
	;;#ASMSTART
	
             v_fmac_f32 v176, v0, v20 
             
	;;#ASMEND
	;;#ASMSTART
	
             v_fmac_f32 v177, v0, v21 
             
	;;#ASMEND
	;; [unrolled: 5-line block ×16, first 2 shown]
	ds_load_b128 v[0:3], v182 offset:7680
	s_waitcnt lgkmcnt(1)
	;;#ASMSTART
	
             v_fmac_f32 v144, v24, v8 
             
	;;#ASMEND
	;;#ASMSTART
	
             v_fmac_f32 v147, v24, v9 
             
	;;#ASMEND
	;; [unrolled: 5-line block ×16, first 2 shown]
	ds_load_b128 v[8:11], v183 offset:24064
	;;#ASMSTART
	
             v_fmac_f32 v134, v24, v20 
             
	;;#ASMEND
	;;#ASMSTART
	
             v_fmac_f32 v135, v24, v21 
             
	;;#ASMEND
	;; [unrolled: 5-line block ×16, first 2 shown]
	ds_load_b128 v[20:23], v183 offset:24320
	ds_load_b128 v[24:27], v182 offset:7936
	s_waitcnt lgkmcnt(2)
	;;#ASMSTART
	
             v_fmac_f32 v180, v0, v8 
             
	;;#ASMEND
	;;#ASMSTART
	
             v_fmac_f32 v181, v0, v9 
             
	;;#ASMEND
	;; [unrolled: 5-line block ×16, first 2 shown]
	s_waitcnt lgkmcnt(1)
	;;#ASMSTART
	
             v_fmac_f32 v176, v0, v20 
             
	;;#ASMEND
	;;#ASMSTART
	
             v_fmac_f32 v177, v0, v21 
             
	;;#ASMEND
	;; [unrolled: 5-line block ×16, first 2 shown]
	s_waitcnt lgkmcnt(0)
	;;#ASMSTART
	
             v_fmac_f32 v144, v24, v8 
             
	;;#ASMEND
	;;#ASMSTART
	
             v_fmac_f32 v147, v24, v9 
             
	;;#ASMEND
	;; [unrolled: 5-line block ×32, first 2 shown]
	s_clause 0x3
	flat_load_b64 v[16:17], v[12:13] offset:8
	flat_load_b32 v10, v[12:13] offset:32
	flat_load_b32 v183, v[12:13] offset:20
	;; [unrolled: 1-line block ×3, first 2 shown]
	v_lshl_add_u32 v182, s8, 7, v80
	v_mov_b32_e32 v21, 0x31004000
	s_mov_b32 s8, exec_lo
	s_waitcnt vmcnt(3) lgkmcnt(3)
	s_delay_alu instid0(VALU_DEP_2)
	v_mul_lo_u32 v0, v16, v182
	s_waitcnt vmcnt(2) lgkmcnt(2)
	v_cmp_gt_i32_e32 vcc_lo, v10, v38
	s_waitcnt vmcnt(1) lgkmcnt(1)
	v_cmp_gt_i32_e64 s1, v183, v182
	s_waitcnt vmcnt(0) lgkmcnt(0)
	v_lshlrev_b32_e32 v20, 2, v1
	s_delay_alu instid0(VALU_DEP_2) | instskip(SKIP_1) | instid1(VALU_DEP_1)
	s_and_b32 s0, s1, vcc_lo
	v_mad_u64_u32 v[8:9], null, v17, v38, v[0:1]
	v_lshlrev_b32_e32 v9, 2, v8
.LBB15_27:                              ; =>This Inner Loop Header: Depth=1
	v_readfirstlane_b32 s4, v18
	v_readfirstlane_b32 s5, v19
	;; [unrolled: 1-line block ×4, first 2 shown]
	s_delay_alu instid0(VALU_DEP_3) | instskip(NEXT) | instid1(VALU_DEP_2)
	v_cmp_eq_u64_e64 s2, s[4:5], v[18:19]
	v_cmp_eq_u64_e64 s3, s[6:7], v[20:21]
	s_delay_alu instid0(VALU_DEP_1) | instskip(NEXT) | instid1(SALU_CYCLE_1)
	s_and_b32 s2, s2, s3
	s_and_saveexec_b32 s2, s2
	buffer_load_b128 v[0:3], v9, s[4:7], 0 offen
                                        ; implicit-def: $vgpr9
	s_xor_b32 exec_lo, exec_lo, s2
	s_cbranch_execnz .LBB15_27
; %bb.28:
	s_mov_b32 exec_lo, s8
	s_waitcnt vmcnt(0)
	v_cndmask_b32_e64 v0, 0, v0, s0
	v_cndmask_b32_e64 v1, 0, v1, s0
	v_cndmask_b32_e64 v3, 0, v3, s0
	v_cndmask_b32_e64 v2, 0, v2, s0
	s_delay_alu instid0(VALU_DEP_4) | instskip(NEXT) | instid1(VALU_DEP_4)
	v_dual_add_f32 v0, v180, v0 :: v_dual_add_nc_u32 v39, 64, v38
	v_add_f32_e32 v1, v181, v1
	s_delay_alu instid0(VALU_DEP_3) | instskip(SKIP_1) | instid1(VALU_DEP_4)
	v_dual_add_f32 v2, v178, v2 :: v_dual_lshlrev_b32 v17, 6, v17
	v_add_f32_e32 v3, v179, v3
	v_cmp_gt_i32_e64 s0, v10, v39
	s_delay_alu instid0(VALU_DEP_4) | instskip(NEXT) | instid1(VALU_DEP_3)
	v_dual_max_f32 v26, 0, v0 :: v_dual_max_f32 v27, 0, v1
	v_dual_max_f32 v28, 0, v2 :: v_dual_max_f32 v29, 0, v3
	v_add_lshl_u32 v9, v8, v17, 2
	s_delay_alu instid0(VALU_DEP_4)
	s_and_b32 s1, s1, s0
	s_mov_b32 s8, exec_lo
.LBB15_29:                              ; =>This Inner Loop Header: Depth=1
	v_readfirstlane_b32 s4, v18
	v_readfirstlane_b32 s5, v19
	;; [unrolled: 1-line block ×4, first 2 shown]
	s_delay_alu instid0(VALU_DEP_3) | instskip(NEXT) | instid1(VALU_DEP_2)
	v_cmp_eq_u64_e64 s2, s[4:5], v[18:19]
	v_cmp_eq_u64_e64 s3, s[6:7], v[20:21]
	s_delay_alu instid0(VALU_DEP_1) | instskip(NEXT) | instid1(SALU_CYCLE_1)
	s_and_b32 s2, s2, s3
	s_and_saveexec_b32 s2, s2
	buffer_load_b128 v[0:3], v9, s[4:7], 0 offen
                                        ; implicit-def: $vgpr9
	s_xor_b32 exec_lo, exec_lo, s2
	s_cbranch_execnz .LBB15_29
; %bb.30:
	s_mov_b32 exec_lo, s8
	s_waitcnt vmcnt(0)
	v_cndmask_b32_e64 v0, 0, v0, s1
	v_cndmask_b32_e64 v1, 0, v1, s1
	;; [unrolled: 1-line block ×4, first 2 shown]
	v_or_b32_e32 v178, 1, v182
	s_delay_alu instid0(VALU_DEP_4) | instskip(NEXT) | instid1(VALU_DEP_4)
	v_dual_add_f32 v0, v176, v0 :: v_dual_add_f32 v1, v177, v1
	v_dual_add_f32 v3, v167, v3 :: v_dual_add_nc_u32 v8, v8, v16
	s_delay_alu instid0(VALU_DEP_4) | instskip(NEXT) | instid1(VALU_DEP_4)
	v_add_f32_e32 v2, v166, v2
	v_cmp_gt_i32_e64 s1, v183, v178
	s_delay_alu instid0(VALU_DEP_4) | instskip(NEXT) | instid1(VALU_DEP_3)
	v_dual_max_f32 v31, 0, v1 :: v_dual_max_f32 v30, 0, v0
	v_dual_max_f32 v33, 0, v3 :: v_dual_max_f32 v32, 0, v2
	v_lshlrev_b32_e32 v9, 2, v8
	s_delay_alu instid0(VALU_DEP_4)
	s_and_b32 s2, s1, vcc_lo
	s_mov_b32 s5, exec_lo
.LBB15_31:                              ; =>This Inner Loop Header: Depth=1
	v_readfirstlane_b32 s8, v18
	v_readfirstlane_b32 s9, v19
	;; [unrolled: 1-line block ×4, first 2 shown]
	s_delay_alu instid0(VALU_DEP_3) | instskip(NEXT) | instid1(VALU_DEP_2)
	v_cmp_eq_u64_e64 s3, s[8:9], v[18:19]
	v_cmp_eq_u64_e64 s4, s[10:11], v[20:21]
	s_delay_alu instid0(VALU_DEP_1) | instskip(NEXT) | instid1(SALU_CYCLE_1)
	s_and_b32 s3, s3, s4
	s_and_saveexec_b32 s3, s3
	buffer_load_b128 v[0:3], v9, s[8:11], 0 offen
                                        ; implicit-def: $vgpr9
	s_xor_b32 exec_lo, exec_lo, s3
	s_cbranch_execnz .LBB15_31
; %bb.32:
	s_mov_b32 exec_lo, s5
	s_waitcnt vmcnt(0)
	v_cndmask_b32_e64 v0, 0, v0, s2
	v_cndmask_b32_e64 v1, 0, v1, s2
	;; [unrolled: 1-line block ×4, first 2 shown]
	v_add_lshl_u32 v9, v8, v17, 2
	s_delay_alu instid0(VALU_DEP_4) | instskip(NEXT) | instid1(VALU_DEP_3)
	v_dual_add_f32 v0, v165, v0 :: v_dual_add_f32 v1, v164, v1
	v_dual_add_f32 v2, v163, v2 :: v_dual_add_f32 v3, v162, v3
	s_and_b32 s1, s1, s0
	s_delay_alu instid0(VALU_DEP_2) | instskip(NEXT) | instid1(VALU_DEP_2)
	v_dual_max_f32 v22, 0, v0 :: v_dual_max_f32 v23, 0, v1
	v_dual_max_f32 v24, 0, v2 :: v_dual_max_f32 v25, 0, v3
	s_mov_b32 s8, exec_lo
.LBB15_33:                              ; =>This Inner Loop Header: Depth=1
	v_readfirstlane_b32 s4, v18
	v_readfirstlane_b32 s5, v19
	;; [unrolled: 1-line block ×4, first 2 shown]
	s_delay_alu instid0(VALU_DEP_3) | instskip(NEXT) | instid1(VALU_DEP_2)
	v_cmp_eq_u64_e64 s2, s[4:5], v[18:19]
	v_cmp_eq_u64_e64 s3, s[6:7], v[20:21]
	s_delay_alu instid0(VALU_DEP_1) | instskip(NEXT) | instid1(SALU_CYCLE_1)
	s_and_b32 s2, s2, s3
	s_and_saveexec_b32 s2, s2
	buffer_load_b128 v[0:3], v9, s[4:7], 0 offen
                                        ; implicit-def: $vgpr9
	s_xor_b32 exec_lo, exec_lo, s2
	s_cbranch_execnz .LBB15_33
; %bb.34:
	s_mov_b32 exec_lo, s8
	s_waitcnt vmcnt(0)
	v_cndmask_b32_e64 v0, 0, v0, s1
	v_cndmask_b32_e64 v1, 0, v1, s1
	v_cndmask_b32_e64 v3, 0, v3, s1
	v_cndmask_b32_e64 v2, 0, v2, s1
	v_or_b32_e32 v162, 2, v182
	s_delay_alu instid0(VALU_DEP_4) | instskip(NEXT) | instid1(VALU_DEP_4)
	v_dual_add_f32 v0, v83, v0 :: v_dual_add_f32 v1, v161, v1
	v_dual_add_f32 v3, v82, v3 :: v_dual_add_nc_u32 v8, v8, v16
	s_delay_alu instid0(VALU_DEP_4) | instskip(NEXT) | instid1(VALU_DEP_4)
	v_add_f32_e32 v2, v81, v2
	v_cmp_gt_i32_e64 s1, v183, v162
	s_delay_alu instid0(VALU_DEP_4) | instskip(NEXT) | instid1(VALU_DEP_3)
	v_dual_max_f32 v81, 0, v1 :: v_dual_max_f32 v80, 0, v0
	v_dual_max_f32 v83, 0, v3 :: v_dual_max_f32 v82, 0, v2
	v_lshlrev_b32_e32 v9, 2, v8
	s_delay_alu instid0(VALU_DEP_4)
	s_and_b32 s2, s1, vcc_lo
	s_mov_b32 s5, exec_lo
.LBB15_35:                              ; =>This Inner Loop Header: Depth=1
	v_readfirstlane_b32 s8, v18
	v_readfirstlane_b32 s9, v19
	;; [unrolled: 1-line block ×4, first 2 shown]
	s_delay_alu instid0(VALU_DEP_3) | instskip(NEXT) | instid1(VALU_DEP_2)
	v_cmp_eq_u64_e64 s3, s[8:9], v[18:19]
	v_cmp_eq_u64_e64 s4, s[10:11], v[20:21]
	s_delay_alu instid0(VALU_DEP_1) | instskip(NEXT) | instid1(SALU_CYCLE_1)
	s_and_b32 s3, s3, s4
	s_and_saveexec_b32 s3, s3
	buffer_load_b128 v[0:3], v9, s[8:11], 0 offen
                                        ; implicit-def: $vgpr9
	s_xor_b32 exec_lo, exec_lo, s3
	s_cbranch_execnz .LBB15_35
; %bb.36:
	s_mov_b32 exec_lo, s5
	s_waitcnt vmcnt(0)
	v_cndmask_b32_e64 v0, 0, v0, s2
	v_cndmask_b32_e64 v1, 0, v1, s2
	v_cndmask_b32_e64 v2, 0, v2, s2
	v_cndmask_b32_e64 v3, 0, v3, s2
	v_add_lshl_u32 v9, v8, v17, 2
	s_delay_alu instid0(VALU_DEP_4) | instskip(NEXT) | instid1(VALU_DEP_3)
	v_dual_add_f32 v0, v160, v0 :: v_dual_add_f32 v1, v55, v1
	v_dual_add_f32 v2, v54, v2 :: v_dual_add_f32 v3, v53, v3
	s_and_b32 s1, s1, s0
	s_delay_alu instid0(VALU_DEP_2) | instskip(NEXT) | instid1(VALU_DEP_2)
	v_dual_max_f32 v52, 0, v0 :: v_dual_max_f32 v53, 0, v1
	v_dual_max_f32 v54, 0, v2 :: v_dual_max_f32 v55, 0, v3
	s_mov_b32 s8, exec_lo
.LBB15_37:                              ; =>This Inner Loop Header: Depth=1
	v_readfirstlane_b32 s4, v18
	v_readfirstlane_b32 s5, v19
	;; [unrolled: 1-line block ×4, first 2 shown]
	s_delay_alu instid0(VALU_DEP_3) | instskip(NEXT) | instid1(VALU_DEP_2)
	v_cmp_eq_u64_e64 s2, s[4:5], v[18:19]
	v_cmp_eq_u64_e64 s3, s[6:7], v[20:21]
	s_delay_alu instid0(VALU_DEP_1) | instskip(NEXT) | instid1(SALU_CYCLE_1)
	s_and_b32 s2, s2, s3
	s_and_saveexec_b32 s2, s2
	buffer_load_b128 v[0:3], v9, s[4:7], 0 offen
                                        ; implicit-def: $vgpr9
	s_xor_b32 exec_lo, exec_lo, s2
	s_cbranch_execnz .LBB15_37
; %bb.38:
	s_mov_b32 exec_lo, s8
	s_waitcnt vmcnt(0)
	v_cndmask_b32_e64 v0, 0, v0, s1
	v_cndmask_b32_e64 v1, 0, v1, s1
	v_cndmask_b32_e64 v3, 0, v3, s1
	v_cndmask_b32_e64 v2, 0, v2, s1
	v_or_b32_e32 v160, 3, v182
	s_delay_alu instid0(VALU_DEP_4) | instskip(NEXT) | instid1(VALU_DEP_3)
	v_dual_add_f32 v0, v5, v0 :: v_dual_add_f32 v1, v70, v1
	v_dual_add_f32 v3, v69, v3 :: v_dual_add_f32 v2, v68, v2
	v_add_nc_u32_e32 v5, v8, v16
	s_delay_alu instid0(VALU_DEP_4) | instskip(NEXT) | instid1(VALU_DEP_4)
	v_cmp_gt_i32_e64 s1, v183, v160
	v_dual_max_f32 v68, 0, v0 :: v_dual_max_f32 v69, 0, v1
	s_delay_alu instid0(VALU_DEP_4) | instskip(NEXT) | instid1(VALU_DEP_4)
	v_dual_max_f32 v70, 0, v2 :: v_dual_max_f32 v71, 0, v3
	v_lshlrev_b32_e32 v8, 2, v5
	s_delay_alu instid0(VALU_DEP_4)
	s_and_b32 s2, s1, vcc_lo
	s_mov_b32 s5, exec_lo
.LBB15_39:                              ; =>This Inner Loop Header: Depth=1
	v_readfirstlane_b32 s8, v18
	v_readfirstlane_b32 s9, v19
	;; [unrolled: 1-line block ×4, first 2 shown]
	s_delay_alu instid0(VALU_DEP_3) | instskip(NEXT) | instid1(VALU_DEP_2)
	v_cmp_eq_u64_e64 s3, s[8:9], v[18:19]
	v_cmp_eq_u64_e64 s4, s[10:11], v[20:21]
	s_delay_alu instid0(VALU_DEP_1) | instskip(NEXT) | instid1(SALU_CYCLE_1)
	s_and_b32 s3, s3, s4
	s_and_saveexec_b32 s3, s3
	buffer_load_b128 v[0:3], v8, s[8:11], 0 offen
                                        ; implicit-def: $vgpr8
	s_xor_b32 exec_lo, exec_lo, s3
	s_cbranch_execnz .LBB15_39
; %bb.40:
	s_mov_b32 exec_lo, s5
	s_waitcnt vmcnt(0)
	v_cndmask_b32_e64 v0, 0, v0, s2
	v_cndmask_b32_e64 v1, 0, v1, s2
	;; [unrolled: 1-line block ×4, first 2 shown]
	v_add_lshl_u32 v8, v5, v17, 2
	s_delay_alu instid0(VALU_DEP_4) | instskip(NEXT) | instid1(VALU_DEP_3)
	v_dual_add_f32 v0, v151, v0 :: v_dual_add_f32 v1, v150, v1
	v_dual_add_f32 v2, v149, v2 :: v_dual_add_f32 v3, v148, v3
	s_and_b32 s1, s1, s0
	s_delay_alu instid0(VALU_DEP_2) | instskip(NEXT) | instid1(VALU_DEP_2)
	v_dual_max_f32 v34, 0, v0 :: v_dual_max_f32 v35, 0, v1
	v_dual_max_f32 v36, 0, v2 :: v_dual_max_f32 v37, 0, v3
	s_mov_b32 s8, exec_lo
.LBB15_41:                              ; =>This Inner Loop Header: Depth=1
	v_readfirstlane_b32 s4, v18
	v_readfirstlane_b32 s5, v19
	;; [unrolled: 1-line block ×4, first 2 shown]
	s_delay_alu instid0(VALU_DEP_3) | instskip(NEXT) | instid1(VALU_DEP_2)
	v_cmp_eq_u64_e64 s2, s[4:5], v[18:19]
	v_cmp_eq_u64_e64 s3, s[6:7], v[20:21]
	s_delay_alu instid0(VALU_DEP_1) | instskip(NEXT) | instid1(SALU_CYCLE_1)
	s_and_b32 s2, s2, s3
	s_and_saveexec_b32 s2, s2
	buffer_load_b128 v[0:3], v8, s[4:7], 0 offen
                                        ; implicit-def: $vgpr8
	s_xor_b32 exec_lo, exec_lo, s2
	s_cbranch_execnz .LBB15_41
; %bb.42:
	s_mov_b32 exec_lo, s8
	s_waitcnt vmcnt(0)
	v_cndmask_b32_e64 v0, 0, v0, s1
	v_cndmask_b32_e64 v1, 0, v1, s1
	v_cndmask_b32_e64 v3, 0, v3, s1
	v_cndmask_b32_e64 v2, 0, v2, s1
	v_mad_u64_u32 v[12:13], null, v16, 61, v[5:6]
	s_delay_alu instid0(VALU_DEP_3) | instskip(SKIP_1) | instid1(VALU_DEP_4)
	v_dual_add_f32 v3, v85, v3 :: v_dual_add_nc_u32 v148, 64, v182
	v_dual_add_f32 v0, v87, v0 :: v_dual_add_f32 v1, v86, v1
	v_add_f32_e32 v2, v84, v2
	s_delay_alu instid0(VALU_DEP_3) | instskip(NEXT) | instid1(VALU_DEP_3)
	v_cmp_gt_i32_e64 s1, v183, v148
	v_dual_max_f32 v87, 0, v3 :: v_dual_max_f32 v84, 0, v0
	s_delay_alu instid0(VALU_DEP_3) | instskip(SKIP_1) | instid1(VALU_DEP_4)
	v_dual_max_f32 v85, 0, v1 :: v_dual_max_f32 v86, 0, v2
	v_lshlrev_b32_e32 v5, 2, v12
	s_and_b32 s2, s1, vcc_lo
	s_mov_b32 s5, exec_lo
.LBB15_43:                              ; =>This Inner Loop Header: Depth=1
	v_readfirstlane_b32 s8, v18
	v_readfirstlane_b32 s9, v19
	;; [unrolled: 1-line block ×4, first 2 shown]
	s_delay_alu instid0(VALU_DEP_3) | instskip(NEXT) | instid1(VALU_DEP_2)
	v_cmp_eq_u64_e64 s3, s[8:9], v[18:19]
	v_cmp_eq_u64_e64 s4, s[10:11], v[20:21]
	s_delay_alu instid0(VALU_DEP_1) | instskip(NEXT) | instid1(SALU_CYCLE_1)
	s_and_b32 s3, s3, s4
	s_and_saveexec_b32 s3, s3
	buffer_load_b128 v[0:3], v5, s[8:11], 0 offen
                                        ; implicit-def: $vgpr5
	s_xor_b32 exec_lo, exec_lo, s3
	s_cbranch_execnz .LBB15_43
; %bb.44:
	s_mov_b32 exec_lo, s5
	s_waitcnt vmcnt(0)
	v_cndmask_b32_e64 v0, 0, v0, s2
	v_cndmask_b32_e64 v1, 0, v1, s2
	;; [unrolled: 1-line block ×4, first 2 shown]
	v_add_lshl_u32 v5, v12, v17, 2
	s_delay_alu instid0(VALU_DEP_4) | instskip(NEXT) | instid1(VALU_DEP_3)
	v_dual_add_f32 v0, v144, v0 :: v_dual_add_f32 v1, v147, v1
	v_dual_add_f32 v2, v146, v2 :: v_dual_add_f32 v3, v145, v3
	s_and_b32 s1, s1, s0
	s_delay_alu instid0(VALU_DEP_2) | instskip(NEXT) | instid1(VALU_DEP_2)
	v_dual_max_f32 v0, 0, v0 :: v_dual_max_f32 v1, 0, v1
	v_dual_max_f32 v2, 0, v2 :: v_dual_max_f32 v3, 0, v3
	s_mov_b32 s8, exec_lo
.LBB15_45:                              ; =>This Inner Loop Header: Depth=1
	v_readfirstlane_b32 s4, v18
	v_readfirstlane_b32 s5, v19
	;; [unrolled: 1-line block ×4, first 2 shown]
	s_delay_alu instid0(VALU_DEP_3) | instskip(NEXT) | instid1(VALU_DEP_2)
	v_cmp_eq_u64_e64 s2, s[4:5], v[18:19]
	v_cmp_eq_u64_e64 s3, s[6:7], v[20:21]
	s_delay_alu instid0(VALU_DEP_1) | instskip(NEXT) | instid1(SALU_CYCLE_1)
	s_and_b32 s2, s2, s3
	s_and_saveexec_b32 s2, s2
	buffer_load_b128 v[8:11], v5, s[4:7], 0 offen
                                        ; implicit-def: $vgpr5
	s_xor_b32 exec_lo, exec_lo, s2
	s_cbranch_execnz .LBB15_45
; %bb.46:
	s_mov_b32 exec_lo, s8
	s_waitcnt vmcnt(0)
	v_cndmask_b32_e64 v8, 0, v8, s1
	v_cndmask_b32_e64 v9, 0, v9, s1
	;; [unrolled: 1-line block ×4, first 2 shown]
	v_add_nc_u32_e32 v5, 0x41, v182
	v_add_f32_e32 v13, v134, v8
	v_dual_add_f32 v9, v135, v9 :: v_dual_add_nc_u32 v8, v12, v16
	s_delay_alu instid0(VALU_DEP_4) | instskip(SKIP_3) | instid1(VALU_DEP_4)
	v_add_f32_e32 v12, v132, v10
	v_add_f32_e32 v48, v133, v11
	v_cmp_gt_i32_e64 s1, v183, v5
	v_max_f32_e32 v10, 0, v13
	v_dual_max_f32 v11, 0, v9 :: v_dual_max_f32 v12, 0, v12
	s_delay_alu instid0(VALU_DEP_4)
	v_max_f32_e32 v13, 0, v48
	v_lshlrev_b32_e32 v9, 2, v8
	s_and_b32 s2, s1, vcc_lo
	s_mov_b32 s5, exec_lo
.LBB15_47:                              ; =>This Inner Loop Header: Depth=1
	v_readfirstlane_b32 s8, v18
	v_readfirstlane_b32 s9, v19
	;; [unrolled: 1-line block ×4, first 2 shown]
	s_delay_alu instid0(VALU_DEP_3) | instskip(NEXT) | instid1(VALU_DEP_2)
	v_cmp_eq_u64_e64 s3, s[8:9], v[18:19]
	v_cmp_eq_u64_e64 s4, s[10:11], v[20:21]
	s_delay_alu instid0(VALU_DEP_1) | instskip(NEXT) | instid1(SALU_CYCLE_1)
	s_and_b32 s3, s3, s4
	s_and_saveexec_b32 s3, s3
	buffer_load_b128 v[48:51], v9, s[8:11], 0 offen
                                        ; implicit-def: $vgpr9
	s_xor_b32 exec_lo, exec_lo, s3
	s_cbranch_execnz .LBB15_47
; %bb.48:
	s_mov_b32 exec_lo, s5
	s_waitcnt vmcnt(0)
	v_cndmask_b32_e64 v9, 0, v48, s2
	v_cndmask_b32_e64 v48, 0, v49, s2
	;; [unrolled: 1-line block ×4, first 2 shown]
	s_and_b32 s1, s1, s0
	v_add_f32_e32 v9, v67, v9
	s_mov_b32 s8, exec_lo
	s_delay_alu instid0(VALU_DEP_2) | instskip(NEXT) | instid1(VALU_DEP_2)
	v_dual_add_f32 v65, v65, v49 :: v_dual_add_f32 v64, v64, v50
	v_dual_add_f32 v51, v66, v48 :: v_dual_max_f32 v48, 0, v9
	v_add_lshl_u32 v9, v8, v17, 2
	s_delay_alu instid0(VALU_DEP_2) | instskip(NEXT) | instid1(VALU_DEP_4)
	v_dual_max_f32 v50, 0, v65 :: v_dual_max_f32 v49, 0, v51
	v_max_f32_e32 v51, 0, v64
.LBB15_49:                              ; =>This Inner Loop Header: Depth=1
	v_readfirstlane_b32 s4, v18
	v_readfirstlane_b32 s5, v19
	;; [unrolled: 1-line block ×4, first 2 shown]
	s_delay_alu instid0(VALU_DEP_3) | instskip(NEXT) | instid1(VALU_DEP_2)
	v_cmp_eq_u64_e64 s2, s[4:5], v[18:19]
	v_cmp_eq_u64_e64 s3, s[6:7], v[20:21]
	s_delay_alu instid0(VALU_DEP_1) | instskip(NEXT) | instid1(SALU_CYCLE_1)
	s_and_b32 s2, s2, s3
	s_and_saveexec_b32 s2, s2
	buffer_load_b128 v[64:67], v9, s[4:7], 0 offen
                                        ; implicit-def: $vgpr9
	s_xor_b32 exec_lo, exec_lo, s2
	s_cbranch_execnz .LBB15_49
; %bb.50:
	s_mov_b32 exec_lo, s8
	s_waitcnt vmcnt(0)
	v_cndmask_b32_e64 v9, 0, v64, s1
	v_cndmask_b32_e64 v64, 0, v65, s1
	;; [unrolled: 1-line block ×4, first 2 shown]
	s_delay_alu instid0(VALU_DEP_4) | instskip(NEXT) | instid1(VALU_DEP_4)
	v_dual_add_f32 v9, v98, v9 :: v_dual_add_nc_u32 v132, 0x42, v182
	v_add_f32_e32 v67, v99, v64
	s_mov_b32 s5, exec_lo
	s_delay_alu instid0(VALU_DEP_3) | instskip(SKIP_4) | instid1(VALU_DEP_4)
	v_add_f32_e32 v66, v96, v66
	v_add_nc_u32_e32 v8, v8, v16
	v_add_f32_e32 v96, v97, v65
	v_cmp_gt_i32_e64 s1, v183, v132
	v_dual_max_f32 v64, 0, v9 :: v_dual_max_f32 v65, 0, v67
	v_dual_max_f32 v66, 0, v66 :: v_dual_lshlrev_b32 v9, 2, v8
	s_delay_alu instid0(VALU_DEP_4) | instskip(NEXT) | instid1(VALU_DEP_4)
	v_max_f32_e32 v67, 0, v96
	s_and_b32 s2, s1, vcc_lo
.LBB15_51:                              ; =>This Inner Loop Header: Depth=1
	v_readfirstlane_b32 s8, v18
	v_readfirstlane_b32 s9, v19
	;; [unrolled: 1-line block ×4, first 2 shown]
	s_delay_alu instid0(VALU_DEP_3) | instskip(NEXT) | instid1(VALU_DEP_2)
	v_cmp_eq_u64_e64 s3, s[8:9], v[18:19]
	v_cmp_eq_u64_e64 s4, s[10:11], v[20:21]
	s_delay_alu instid0(VALU_DEP_1) | instskip(NEXT) | instid1(SALU_CYCLE_1)
	s_and_b32 s3, s3, s4
	s_and_saveexec_b32 s3, s3
	buffer_load_b128 v[96:99], v9, s[8:11], 0 offen
                                        ; implicit-def: $vgpr9
	s_xor_b32 exec_lo, exec_lo, s3
	s_cbranch_execnz .LBB15_51
; %bb.52:
	s_mov_b32 exec_lo, s5
	s_waitcnt vmcnt(0)
	v_cndmask_b32_e64 v9, 0, v96, s2
	v_cndmask_b32_e64 v96, 0, v97, s2
	;; [unrolled: 1-line block ×4, first 2 shown]
	s_and_b32 s1, s1, s0
	v_add_f32_e32 v9, v103, v9
	s_mov_b32 s8, exec_lo
	s_delay_alu instid0(VALU_DEP_2) | instskip(NEXT) | instid1(VALU_DEP_2)
	v_dual_add_f32 v101, v101, v97 :: v_dual_add_f32 v100, v100, v98
	v_dual_add_f32 v99, v102, v96 :: v_dual_max_f32 v96, 0, v9
	v_add_lshl_u32 v9, v8, v17, 2
	s_delay_alu instid0(VALU_DEP_2) | instskip(NEXT) | instid1(VALU_DEP_4)
	v_dual_max_f32 v98, 0, v101 :: v_dual_max_f32 v97, 0, v99
	v_max_f32_e32 v99, 0, v100
.LBB15_53:                              ; =>This Inner Loop Header: Depth=1
	v_readfirstlane_b32 s4, v18
	v_readfirstlane_b32 s5, v19
	;; [unrolled: 1-line block ×4, first 2 shown]
	s_delay_alu instid0(VALU_DEP_3) | instskip(NEXT) | instid1(VALU_DEP_2)
	v_cmp_eq_u64_e64 s2, s[4:5], v[18:19]
	v_cmp_eq_u64_e64 s3, s[6:7], v[20:21]
	s_delay_alu instid0(VALU_DEP_1) | instskip(NEXT) | instid1(SALU_CYCLE_1)
	s_and_b32 s2, s2, s3
	s_and_saveexec_b32 s2, s2
	buffer_load_b128 v[100:103], v9, s[4:7], 0 offen
                                        ; implicit-def: $vgpr9
	s_xor_b32 exec_lo, exec_lo, s2
	s_cbranch_execnz .LBB15_53
; %bb.54:
	s_mov_b32 exec_lo, s8
	s_waitcnt vmcnt(0)
	v_cndmask_b32_e64 v9, 0, v100, s1
	v_cndmask_b32_e64 v100, 0, v101, s1
	;; [unrolled: 1-line block ×4, first 2 shown]
	v_add_nc_u32_e32 v133, 0x43, v182
	v_dual_add_f32 v9, v114, v9 :: v_dual_add_nc_u32 v8, v8, v16
	s_delay_alu instid0(VALU_DEP_3) | instskip(SKIP_1) | instid1(VALU_DEP_4)
	v_dual_add_f32 v103, v115, v100 :: v_dual_add_f32 v16, v112, v102
	v_add_f32_e32 v112, v113, v101
	v_cmp_gt_i32_e64 s1, v183, v133
	s_delay_alu instid0(VALU_DEP_3) | instskip(NEXT) | instid1(VALU_DEP_4)
	v_dual_max_f32 v100, 0, v9 :: v_dual_max_f32 v101, 0, v103
	v_max_f32_e32 v102, 0, v16
	s_delay_alu instid0(VALU_DEP_4)
	v_max_f32_e32 v103, 0, v112
	v_lshlrev_b32_e32 v9, 2, v8
	s_and_b32 vcc_lo, s1, vcc_lo
	s_mov_b32 s8, exec_lo
.LBB15_55:                              ; =>This Inner Loop Header: Depth=1
	v_readfirstlane_b32 s4, v18
	v_readfirstlane_b32 s5, v19
	;; [unrolled: 1-line block ×4, first 2 shown]
	s_delay_alu instid0(VALU_DEP_3) | instskip(NEXT) | instid1(VALU_DEP_2)
	v_cmp_eq_u64_e64 s2, s[4:5], v[18:19]
	v_cmp_eq_u64_e64 s3, s[6:7], v[20:21]
	s_delay_alu instid0(VALU_DEP_1) | instskip(NEXT) | instid1(SALU_CYCLE_1)
	s_and_b32 s2, s2, s3
	s_and_saveexec_b32 s2, s2
	buffer_load_b128 v[112:115], v9, s[4:7], 0 offen
                                        ; implicit-def: $vgpr9
	s_xor_b32 exec_lo, exec_lo, s2
	s_cbranch_execnz .LBB15_55
; %bb.56:
	s_mov_b32 exec_lo, s8
	s_waitcnt vmcnt(0)
	v_dual_cndmask_b32 v9, 0, v112 :: v_dual_cndmask_b32 v16, 0, v113
	v_dual_cndmask_b32 v112, 0, v114 :: v_dual_cndmask_b32 v113, 0, v115
	v_add_lshl_u32 v8, v8, v17, 2
	s_delay_alu instid0(VALU_DEP_3) | instskip(NEXT) | instid1(VALU_DEP_3)
	v_dual_add_f32 v9, v119, v9 :: v_dual_add_f32 v16, v118, v16
	v_dual_add_f32 v114, v116, v112 :: v_dual_add_f32 v115, v117, v113
	s_and_b32 vcc_lo, s1, s0
	s_delay_alu instid0(VALU_DEP_2) | instskip(NEXT) | instid1(VALU_DEP_2)
	v_dual_max_f32 v112, 0, v9 :: v_dual_max_f32 v113, 0, v16
	v_dual_max_f32 v114, 0, v114 :: v_dual_max_f32 v115, 0, v115
	s_mov_b32 s2, exec_lo
.LBB15_57:                              ; =>This Inner Loop Header: Depth=1
	v_readfirstlane_b32 s4, v18
	v_readfirstlane_b32 s5, v19
	;; [unrolled: 1-line block ×4, first 2 shown]
	s_delay_alu instid0(VALU_DEP_3) | instskip(NEXT) | instid1(VALU_DEP_2)
	v_cmp_eq_u64_e64 s0, s[4:5], v[18:19]
	v_cmp_eq_u64_e64 s1, s[6:7], v[20:21]
	s_delay_alu instid0(VALU_DEP_1) | instskip(NEXT) | instid1(SALU_CYCLE_1)
	s_and_b32 s0, s0, s1
	s_and_saveexec_b32 s0, s0
	buffer_load_b128 v[116:119], v8, s[4:7], 0 offen
                                        ; implicit-def: $vgpr18_vgpr19_vgpr20_vgpr21
                                        ; implicit-def: $vgpr8
	s_xor_b32 exec_lo, exec_lo, s0
	s_cbranch_execnz .LBB15_57
; %bb.58:
	s_mov_b32 exec_lo, s2
	s_clause 0x2
	flat_load_b64 v[8:9], v[14:15] offset:8
	flat_load_b32 v17, v[14:15] offset:32
	flat_load_b32 v18, v[14:15] offset:20
	s_waitcnt vmcnt(3)
	v_dual_cndmask_b32 v16, 0, v116 :: v_dual_cndmask_b32 v19, 0, v117
	v_cndmask_b32_e32 v20, 0, v118, vcc_lo
	s_mov_b32 s1, exec_lo
	s_delay_alu instid0(VALU_DEP_2) | instskip(NEXT) | instid1(VALU_DEP_2)
	v_dual_cndmask_b32 v21, 0, v119 :: v_dual_add_f32 v16, v130, v16
	v_dual_add_f32 v19, v128, v19 :: v_dual_add_f32 v116, v129, v20
	s_delay_alu instid0(VALU_DEP_2)
	v_dual_add_f32 v117, v131, v21 :: v_dual_max_f32 v16, 0, v16
	s_waitcnt vmcnt(2) lgkmcnt(2)
	v_mul_lo_u32 v8, v8, v182
	s_waitcnt vmcnt(1) lgkmcnt(1)
	v_cmp_gt_i32_e32 vcc_lo, v17, v38
	s_waitcnt vmcnt(0) lgkmcnt(0)
	v_cmp_gt_i32_e64 s0, v18, v182
	v_dual_max_f32 v17, 0, v19 :: v_dual_max_f32 v18, 0, v116
	v_max_f32_e32 v19, 0, v117
	s_delay_alu instid0(VALU_DEP_3) | instskip(SKIP_3) | instid1(VALU_DEP_2)
	s_and_b32 s0, s0, vcc_lo
	v_mad_u64_u32 v[20:21], null, v9, v38, v[8:9]
	v_cndmask_b32_e64 v21, 0x80000000, 0, s0
	v_dual_mov_b32 v9, 0x31004000 :: v_dual_lshlrev_b32 v8, 2, v4
	v_lshl_add_u32 v4, v20, 2, v21
.LBB15_59:                              ; =>This Inner Loop Header: Depth=1
	v_readfirstlane_b32 s4, v6
	v_readfirstlane_b32 s5, v7
	s_delay_alu instid0(VALU_DEP_4) | instskip(SKIP_1) | instid1(VALU_DEP_3)
	v_readfirstlane_b32 s6, v8
	v_readfirstlane_b32 s7, v9
	v_cmp_eq_u64_e32 vcc_lo, s[4:5], v[6:7]
	s_delay_alu instid0(VALU_DEP_2) | instskip(NEXT) | instid1(VALU_DEP_1)
	v_cmp_eq_u64_e64 s0, s[6:7], v[8:9]
	s_and_b32 s0, vcc_lo, s0
	s_delay_alu instid0(SALU_CYCLE_1)
	s_and_saveexec_b32 s0, s0
	buffer_store_b128 v[26:29], v4, s[4:7], 0 offen
                                        ; implicit-def: $vgpr26_vgpr27_vgpr28_vgpr29
                                        ; implicit-def: $vgpr4
	s_xor_b32 exec_lo, exec_lo, s0
	s_cbranch_execnz .LBB15_59
; %bb.60:
	s_mov_b32 exec_lo, s1
	s_clause 0x2
	flat_load_b32 v4, v[14:15] offset:32
	flat_load_b32 v21, v[14:15] offset:20
	;; [unrolled: 1-line block ×3, first 2 shown]
	s_mov_b32 s1, exec_lo
	s_waitcnt vmcnt(2) lgkmcnt(2)
	v_cmp_gt_i32_e32 vcc_lo, v4, v39
	s_waitcnt vmcnt(1) lgkmcnt(1)
	v_cmp_gt_i32_e64 s0, v21, v182
	s_waitcnt vmcnt(0) lgkmcnt(0)
	v_lshl_add_u32 v4, v26, 6, v20
	s_delay_alu instid0(VALU_DEP_2) | instskip(NEXT) | instid1(SALU_CYCLE_1)
	s_and_b32 s0, s0, vcc_lo
	v_cndmask_b32_e64 v20, 0x80000000, 0, s0
	s_delay_alu instid0(VALU_DEP_1)
	v_lshl_add_u32 v20, v4, 2, v20
.LBB15_61:                              ; =>This Inner Loop Header: Depth=1
	v_readfirstlane_b32 s4, v6
	v_readfirstlane_b32 s5, v7
	v_readfirstlane_b32 s6, v8
	v_readfirstlane_b32 s7, v9
	s_delay_alu instid0(VALU_DEP_3) | instskip(NEXT) | instid1(VALU_DEP_2)
	v_cmp_eq_u64_e32 vcc_lo, s[4:5], v[6:7]
	v_cmp_eq_u64_e64 s0, s[6:7], v[8:9]
	s_delay_alu instid0(VALU_DEP_1) | instskip(NEXT) | instid1(SALU_CYCLE_1)
	s_and_b32 s0, vcc_lo, s0
	s_and_saveexec_b32 s0, s0
	buffer_store_b128 v[30:33], v20, s[4:7], 0 offen
                                        ; implicit-def: $vgpr30_vgpr31_vgpr32_vgpr33
                                        ; implicit-def: $vgpr20
	s_xor_b32 exec_lo, exec_lo, s0
	s_cbranch_execnz .LBB15_61
; %bb.62:
	s_mov_b32 exec_lo, s1
	s_clause 0x2
	flat_load_b32 v20, v[14:15] offset:32
	flat_load_b32 v21, v[14:15] offset:20
	flat_load_b32 v26, v[14:15] offset:8
	s_mov_b32 s1, exec_lo
	s_waitcnt vmcnt(2) lgkmcnt(2)
	v_cmp_gt_i32_e32 vcc_lo, v20, v39
	s_waitcnt vmcnt(1) lgkmcnt(1)
	v_cmp_gt_i32_e64 s0, v21, v178
	s_waitcnt vmcnt(0) lgkmcnt(0)
	v_add_nc_u32_e32 v4, v26, v4
	s_delay_alu instid0(VALU_DEP_2) | instskip(NEXT) | instid1(SALU_CYCLE_1)
	s_and_b32 s0, s0, vcc_lo
	v_cndmask_b32_e64 v20, 0x80000000, 0, s0
	s_delay_alu instid0(VALU_DEP_1)
	v_lshl_add_u32 v20, v4, 2, v20
.LBB15_63:                              ; =>This Inner Loop Header: Depth=1
	v_readfirstlane_b32 s4, v6
	v_readfirstlane_b32 s5, v7
	;; [unrolled: 1-line block ×4, first 2 shown]
	s_delay_alu instid0(VALU_DEP_3) | instskip(NEXT) | instid1(VALU_DEP_2)
	v_cmp_eq_u64_e32 vcc_lo, s[4:5], v[6:7]
	v_cmp_eq_u64_e64 s0, s[6:7], v[8:9]
	s_delay_alu instid0(VALU_DEP_1) | instskip(NEXT) | instid1(SALU_CYCLE_1)
	s_and_b32 s0, vcc_lo, s0
	s_and_saveexec_b32 s0, s0
	buffer_store_b128 v[80:83], v20, s[4:7], 0 offen
                                        ; implicit-def: $vgpr80_vgpr81_vgpr82_vgpr83
                                        ; implicit-def: $vgpr20
	s_xor_b32 exec_lo, exec_lo, s0
	s_cbranch_execnz .LBB15_63
; %bb.64:
	s_mov_b32 exec_lo, s1
	s_clause 0x2
	flat_load_b32 v20, v[14:15] offset:12
	flat_load_b32 v21, v[14:15] offset:32
	;; [unrolled: 1-line block ×3, first 2 shown]
	s_mov_b32 s1, exec_lo
	s_waitcnt vmcnt(2) lgkmcnt(2)
	v_lshlrev_b32_e32 v20, 6, v20
	s_waitcnt vmcnt(1) lgkmcnt(1)
	v_cmp_gt_i32_e32 vcc_lo, v21, v38
	s_waitcnt vmcnt(0) lgkmcnt(0)
	v_cmp_gt_i32_e64 s0, v26, v178
	v_sub_nc_u32_e32 v4, v4, v20
	s_delay_alu instid0(VALU_DEP_2) | instskip(NEXT) | instid1(SALU_CYCLE_1)
	s_and_b32 s0, s0, vcc_lo
	v_cndmask_b32_e64 v20, 0x80000000, 0, s0
	s_delay_alu instid0(VALU_DEP_1)
	v_lshl_add_u32 v20, v4, 2, v20
.LBB15_65:                              ; =>This Inner Loop Header: Depth=1
	v_readfirstlane_b32 s4, v6
	v_readfirstlane_b32 s5, v7
	;; [unrolled: 1-line block ×4, first 2 shown]
	s_delay_alu instid0(VALU_DEP_3) | instskip(NEXT) | instid1(VALU_DEP_2)
	v_cmp_eq_u64_e32 vcc_lo, s[4:5], v[6:7]
	v_cmp_eq_u64_e64 s0, s[6:7], v[8:9]
	s_delay_alu instid0(VALU_DEP_1) | instskip(NEXT) | instid1(SALU_CYCLE_1)
	s_and_b32 s0, vcc_lo, s0
	s_and_saveexec_b32 s0, s0
	buffer_store_b128 v[22:25], v20, s[4:7], 0 offen
                                        ; implicit-def: $vgpr22_vgpr23_vgpr24_vgpr25
                                        ; implicit-def: $vgpr20
	s_xor_b32 exec_lo, exec_lo, s0
	s_cbranch_execnz .LBB15_65
; %bb.66:
	s_mov_b32 exec_lo, s1
	s_clause 0x2
	flat_load_b32 v20, v[14:15] offset:32
	flat_load_b32 v21, v[14:15] offset:20
	;; [unrolled: 1-line block ×3, first 2 shown]
	s_mov_b32 s1, exec_lo
	s_waitcnt vmcnt(2) lgkmcnt(2)
	v_cmp_gt_i32_e32 vcc_lo, v20, v38
	s_waitcnt vmcnt(1) lgkmcnt(1)
	v_cmp_gt_i32_e64 s0, v21, v162
	s_waitcnt vmcnt(0) lgkmcnt(0)
	v_add_nc_u32_e32 v4, v22, v4
	s_delay_alu instid0(VALU_DEP_2) | instskip(NEXT) | instid1(SALU_CYCLE_1)
	s_and_b32 s0, s0, vcc_lo
	v_cndmask_b32_e64 v20, 0x80000000, 0, s0
	s_delay_alu instid0(VALU_DEP_1)
	v_lshl_add_u32 v20, v4, 2, v20
.LBB15_67:                              ; =>This Inner Loop Header: Depth=1
	v_readfirstlane_b32 s4, v6
	v_readfirstlane_b32 s5, v7
	;; [unrolled: 1-line block ×4, first 2 shown]
	s_delay_alu instid0(VALU_DEP_3) | instskip(NEXT) | instid1(VALU_DEP_2)
	v_cmp_eq_u64_e32 vcc_lo, s[4:5], v[6:7]
	v_cmp_eq_u64_e64 s0, s[6:7], v[8:9]
	s_delay_alu instid0(VALU_DEP_1) | instskip(NEXT) | instid1(SALU_CYCLE_1)
	s_and_b32 s0, vcc_lo, s0
	s_and_saveexec_b32 s0, s0
	buffer_store_b128 v[52:55], v20, s[4:7], 0 offen
                                        ; implicit-def: $vgpr52_vgpr53_vgpr54_vgpr55
                                        ; implicit-def: $vgpr20
	s_xor_b32 exec_lo, exec_lo, s0
	s_cbranch_execnz .LBB15_67
; %bb.68:
	s_mov_b32 exec_lo, s1
	s_clause 0x2
	flat_load_b32 v20, v[14:15] offset:32
	flat_load_b32 v21, v[14:15] offset:20
	;; [unrolled: 1-line block ×3, first 2 shown]
	s_mov_b32 s1, exec_lo
	s_waitcnt vmcnt(2) lgkmcnt(2)
	v_cmp_gt_i32_e32 vcc_lo, v20, v39
	s_waitcnt vmcnt(1) lgkmcnt(1)
	v_cmp_gt_i32_e64 s0, v21, v162
	s_waitcnt vmcnt(0) lgkmcnt(0)
	v_lshl_add_u32 v4, v22, 6, v4
	s_delay_alu instid0(VALU_DEP_2) | instskip(NEXT) | instid1(SALU_CYCLE_1)
	s_and_b32 s0, s0, vcc_lo
	v_cndmask_b32_e64 v20, 0x80000000, 0, s0
	s_delay_alu instid0(VALU_DEP_1)
	v_lshl_add_u32 v20, v4, 2, v20
.LBB15_69:                              ; =>This Inner Loop Header: Depth=1
	v_readfirstlane_b32 s4, v6
	v_readfirstlane_b32 s5, v7
	;; [unrolled: 1-line block ×4, first 2 shown]
	s_delay_alu instid0(VALU_DEP_3) | instskip(NEXT) | instid1(VALU_DEP_2)
	v_cmp_eq_u64_e32 vcc_lo, s[4:5], v[6:7]
	v_cmp_eq_u64_e64 s0, s[6:7], v[8:9]
	s_delay_alu instid0(VALU_DEP_1) | instskip(NEXT) | instid1(SALU_CYCLE_1)
	s_and_b32 s0, vcc_lo, s0
	s_and_saveexec_b32 s0, s0
	buffer_store_b128 v[68:71], v20, s[4:7], 0 offen
                                        ; implicit-def: $vgpr68_vgpr69_vgpr70_vgpr71
                                        ; implicit-def: $vgpr20
	s_xor_b32 exec_lo, exec_lo, s0
	s_cbranch_execnz .LBB15_69
; %bb.70:
	s_mov_b32 exec_lo, s1
	s_clause 0x2
	flat_load_b32 v20, v[14:15] offset:32
	flat_load_b32 v21, v[14:15] offset:20
	;; [unrolled: 1-line block ×3, first 2 shown]
	s_mov_b32 s1, exec_lo
	s_waitcnt vmcnt(2) lgkmcnt(2)
	v_cmp_gt_i32_e32 vcc_lo, v20, v39
	s_waitcnt vmcnt(1) lgkmcnt(1)
	v_cmp_gt_i32_e64 s0, v21, v160
	s_waitcnt vmcnt(0) lgkmcnt(0)
	v_add_nc_u32_e32 v4, v22, v4
	s_delay_alu instid0(VALU_DEP_2) | instskip(NEXT) | instid1(SALU_CYCLE_1)
	s_and_b32 s0, s0, vcc_lo
	v_cndmask_b32_e64 v20, 0x80000000, 0, s0
	s_delay_alu instid0(VALU_DEP_1)
	v_lshl_add_u32 v20, v4, 2, v20
.LBB15_71:                              ; =>This Inner Loop Header: Depth=1
	v_readfirstlane_b32 s4, v6
	v_readfirstlane_b32 s5, v7
	;; [unrolled: 1-line block ×4, first 2 shown]
	s_delay_alu instid0(VALU_DEP_3) | instskip(NEXT) | instid1(VALU_DEP_2)
	v_cmp_eq_u64_e32 vcc_lo, s[4:5], v[6:7]
	v_cmp_eq_u64_e64 s0, s[6:7], v[8:9]
	s_delay_alu instid0(VALU_DEP_1) | instskip(NEXT) | instid1(SALU_CYCLE_1)
	s_and_b32 s0, vcc_lo, s0
	s_and_saveexec_b32 s0, s0
	buffer_store_b128 v[84:87], v20, s[4:7], 0 offen
                                        ; implicit-def: $vgpr84_vgpr85_vgpr86_vgpr87
                                        ; implicit-def: $vgpr20
	s_xor_b32 exec_lo, exec_lo, s0
	s_cbranch_execnz .LBB15_71
; %bb.72:
	s_mov_b32 exec_lo, s1
	s_clause 0x2
	flat_load_b32 v20, v[14:15] offset:12
	flat_load_b32 v21, v[14:15] offset:32
	;; [unrolled: 1-line block ×3, first 2 shown]
	s_mov_b32 s1, exec_lo
	s_waitcnt vmcnt(2) lgkmcnt(2)
	v_lshlrev_b32_e32 v20, 6, v20
	s_waitcnt vmcnt(1) lgkmcnt(1)
	v_cmp_gt_i32_e32 vcc_lo, v21, v38
	s_waitcnt vmcnt(0) lgkmcnt(0)
	v_cmp_gt_i32_e64 s0, v22, v160
	v_sub_nc_u32_e32 v4, v4, v20
	s_delay_alu instid0(VALU_DEP_2) | instskip(NEXT) | instid1(SALU_CYCLE_1)
	s_and_b32 s0, s0, vcc_lo
	v_cndmask_b32_e64 v21, 0x80000000, 0, s0
	s_delay_alu instid0(VALU_DEP_2) | instskip(NEXT) | instid1(VALU_DEP_1)
	v_lshlrev_b32_e32 v20, 2, v4
	v_add_nc_u32_e32 v21, v21, v20
.LBB15_73:                              ; =>This Inner Loop Header: Depth=1
	v_readfirstlane_b32 s4, v6
	v_readfirstlane_b32 s5, v7
	;; [unrolled: 1-line block ×4, first 2 shown]
	s_delay_alu instid0(VALU_DEP_3) | instskip(NEXT) | instid1(VALU_DEP_2)
	v_cmp_eq_u64_e32 vcc_lo, s[4:5], v[6:7]
	v_cmp_eq_u64_e64 s0, s[6:7], v[8:9]
	s_delay_alu instid0(VALU_DEP_1) | instskip(NEXT) | instid1(SALU_CYCLE_1)
	s_and_b32 s0, vcc_lo, s0
	s_and_saveexec_b32 s0, s0
	buffer_store_b128 v[34:37], v21, s[4:7], 0 offen
                                        ; implicit-def: $vgpr34_vgpr35_vgpr36_vgpr37
                                        ; implicit-def: $vgpr21
	s_xor_b32 exec_lo, exec_lo, s0
	s_cbranch_execnz .LBB15_73
; %bb.74:
	s_mov_b32 exec_lo, s1
	s_clause 0x2
	flat_load_b32 v22, v[14:15] offset:32
	flat_load_b32 v23, v[14:15] offset:20
	;; [unrolled: 1-line block ×3, first 2 shown]
	s_mov_b32 s1, exec_lo
	s_waitcnt vmcnt(2) lgkmcnt(2)
	v_cmp_gt_i32_e32 vcc_lo, v22, v38
	s_waitcnt vmcnt(1) lgkmcnt(1)
	v_cmp_gt_i32_e64 s0, v23, v133
	s_waitcnt vmcnt(0) lgkmcnt(0)
	v_lshlrev_b32_e32 v22, 8, v21
	s_delay_alu instid0(VALU_DEP_2) | instskip(NEXT) | instid1(SALU_CYCLE_1)
	s_and_b32 s0, s0, vcc_lo
	v_cndmask_b32_e64 v23, 0x80000000, 0, s0
	s_delay_alu instid0(VALU_DEP_1)
	v_add3_u32 v20, v22, v20, v23
.LBB15_75:                              ; =>This Inner Loop Header: Depth=1
	v_readfirstlane_b32 s4, v6
	v_readfirstlane_b32 s5, v7
	;; [unrolled: 1-line block ×4, first 2 shown]
	s_delay_alu instid0(VALU_DEP_3) | instskip(NEXT) | instid1(VALU_DEP_2)
	v_cmp_eq_u64_e32 vcc_lo, s[4:5], v[6:7]
	v_cmp_eq_u64_e64 s0, s[6:7], v[8:9]
	s_delay_alu instid0(VALU_DEP_1) | instskip(NEXT) | instid1(SALU_CYCLE_1)
	s_and_b32 s0, vcc_lo, s0
	s_and_saveexec_b32 s0, s0
	buffer_store_b128 v[112:115], v20, s[4:7], 0 offen
                                        ; implicit-def: $vgpr112_vgpr113_vgpr114_vgpr115
                                        ; implicit-def: $vgpr20
	s_xor_b32 exec_lo, exec_lo, s0
	s_cbranch_execnz .LBB15_75
; %bb.76:
	s_mov_b32 exec_lo, s1
	s_clause 0x2
	flat_load_b32 v20, v[14:15] offset:12
	flat_load_b32 v22, v[14:15] offset:32
	;; [unrolled: 1-line block ×3, first 2 shown]
	s_mov_b32 s1, exec_lo
	s_waitcnt vmcnt(2) lgkmcnt(2)
	v_add_nc_u32_e32 v20, v20, v21
	s_waitcnt vmcnt(1) lgkmcnt(1)
	v_cmp_gt_i32_e32 vcc_lo, v22, v39
	s_waitcnt vmcnt(0) lgkmcnt(0)
	v_cmp_gt_i32_e64 s0, v23, v133
	v_lshl_add_u32 v4, v20, 6, v4
	s_delay_alu instid0(VALU_DEP_2) | instskip(NEXT) | instid1(SALU_CYCLE_1)
	s_and_b32 s0, s0, vcc_lo
	v_cndmask_b32_e64 v20, 0x80000000, 0, s0
	s_delay_alu instid0(VALU_DEP_1)
	v_lshl_add_u32 v20, v4, 2, v20
.LBB15_77:                              ; =>This Inner Loop Header: Depth=1
	v_readfirstlane_b32 s4, v6
	v_readfirstlane_b32 s5, v7
	;; [unrolled: 1-line block ×4, first 2 shown]
	s_delay_alu instid0(VALU_DEP_3) | instskip(NEXT) | instid1(VALU_DEP_2)
	v_cmp_eq_u64_e32 vcc_lo, s[4:5], v[6:7]
	v_cmp_eq_u64_e64 s0, s[6:7], v[8:9]
	s_delay_alu instid0(VALU_DEP_1) | instskip(NEXT) | instid1(SALU_CYCLE_1)
	s_and_b32 s0, vcc_lo, s0
	s_and_saveexec_b32 s0, s0
	buffer_store_b128 v[16:19], v20, s[4:7], 0 offen
                                        ; implicit-def: $vgpr16_vgpr17_vgpr18_vgpr19
                                        ; implicit-def: $vgpr20
	s_xor_b32 exec_lo, exec_lo, s0
	s_cbranch_execnz .LBB15_77
; %bb.78:
	s_mov_b32 exec_lo, s1
	s_clause 0x2
	flat_load_b32 v16, v[14:15] offset:32
	flat_load_b32 v17, v[14:15] offset:20
	;; [unrolled: 1-line block ×3, first 2 shown]
	s_mov_b32 s1, exec_lo
	s_waitcnt vmcnt(2) lgkmcnt(2)
	v_cmp_gt_i32_e32 vcc_lo, v16, v39
	s_waitcnt vmcnt(1) lgkmcnt(1)
	v_cmp_ge_i32_e64 s0, v17, v133
	s_waitcnt vmcnt(0) lgkmcnt(0)
	v_sub_nc_u32_e32 v4, v4, v18
	s_delay_alu instid0(VALU_DEP_2) | instskip(NEXT) | instid1(SALU_CYCLE_1)
	s_and_b32 s0, s0, vcc_lo
	v_cndmask_b32_e64 v16, 0x80000000, 0, s0
	s_delay_alu instid0(VALU_DEP_1)
	v_lshl_add_u32 v16, v4, 2, v16
.LBB15_79:                              ; =>This Inner Loop Header: Depth=1
	v_readfirstlane_b32 s4, v6
	v_readfirstlane_b32 s5, v7
	;; [unrolled: 1-line block ×4, first 2 shown]
	s_delay_alu instid0(VALU_DEP_3) | instskip(NEXT) | instid1(VALU_DEP_2)
	v_cmp_eq_u64_e32 vcc_lo, s[4:5], v[6:7]
	v_cmp_eq_u64_e64 s0, s[6:7], v[8:9]
	s_delay_alu instid0(VALU_DEP_1) | instskip(NEXT) | instid1(SALU_CYCLE_1)
	s_and_b32 s0, vcc_lo, s0
	s_and_saveexec_b32 s0, s0
	buffer_store_b128 v[100:103], v16, s[4:7], 0 offen
                                        ; implicit-def: $vgpr100_vgpr101_vgpr102_vgpr103
                                        ; implicit-def: $vgpr16
	s_xor_b32 exec_lo, exec_lo, s0
	s_cbranch_execnz .LBB15_79
; %bb.80:
	s_mov_b32 exec_lo, s1
	s_clause 0x2
	flat_load_b32 v16, v[14:15] offset:12
	flat_load_b32 v17, v[14:15] offset:32
	;; [unrolled: 1-line block ×3, first 2 shown]
	s_mov_b32 s1, exec_lo
	s_waitcnt vmcnt(2) lgkmcnt(2)
	v_lshlrev_b32_e32 v16, 6, v16
	s_waitcnt vmcnt(1) lgkmcnt(1)
	v_cmp_gt_i32_e32 vcc_lo, v17, v38
	s_waitcnt vmcnt(0) lgkmcnt(0)
	v_cmp_gt_i32_e64 s0, v18, v132
	v_sub_nc_u32_e32 v4, v4, v16
	s_delay_alu instid0(VALU_DEP_2) | instskip(NEXT) | instid1(SALU_CYCLE_1)
	s_and_b32 s0, s0, vcc_lo
	v_cndmask_b32_e64 v16, 0x80000000, 0, s0
	s_delay_alu instid0(VALU_DEP_1)
	v_lshl_add_u32 v16, v4, 2, v16
.LBB15_81:                              ; =>This Inner Loop Header: Depth=1
	v_readfirstlane_b32 s4, v6
	v_readfirstlane_b32 s5, v7
	v_readfirstlane_b32 s6, v8
	v_readfirstlane_b32 s7, v9
	s_delay_alu instid0(VALU_DEP_3) | instskip(NEXT) | instid1(VALU_DEP_2)
	v_cmp_eq_u64_e32 vcc_lo, s[4:5], v[6:7]
	v_cmp_eq_u64_e64 s0, s[6:7], v[8:9]
	s_delay_alu instid0(VALU_DEP_1) | instskip(NEXT) | instid1(SALU_CYCLE_1)
	s_and_b32 s0, vcc_lo, s0
	s_and_saveexec_b32 s0, s0
	buffer_store_b128 v[96:99], v16, s[4:7], 0 offen
                                        ; implicit-def: $vgpr96_vgpr97_vgpr98_vgpr99
                                        ; implicit-def: $vgpr16
	s_xor_b32 exec_lo, exec_lo, s0
	s_cbranch_execnz .LBB15_81
; %bb.82:
	s_mov_b32 exec_lo, s1
	s_clause 0x2
	flat_load_b32 v16, v[14:15] offset:32
	flat_load_b32 v17, v[14:15] offset:20
	;; [unrolled: 1-line block ×3, first 2 shown]
	s_mov_b32 s1, exec_lo
	s_waitcnt vmcnt(2) lgkmcnt(2)
	v_cmp_gt_i32_e32 vcc_lo, v16, v38
	s_waitcnt vmcnt(1) lgkmcnt(1)
	v_cmp_ge_i32_e64 s0, v17, v132
	s_waitcnt vmcnt(0) lgkmcnt(0)
	v_sub_nc_u32_e32 v4, v4, v18
	s_delay_alu instid0(VALU_DEP_2) | instskip(NEXT) | instid1(SALU_CYCLE_1)
	s_and_b32 s0, s0, vcc_lo
	v_cndmask_b32_e64 v16, 0x80000000, 0, s0
	s_delay_alu instid0(VALU_DEP_1)
	v_lshl_add_u32 v16, v4, 2, v16
.LBB15_83:                              ; =>This Inner Loop Header: Depth=1
	v_readfirstlane_b32 s4, v6
	v_readfirstlane_b32 s5, v7
	;; [unrolled: 1-line block ×4, first 2 shown]
	s_delay_alu instid0(VALU_DEP_3) | instskip(NEXT) | instid1(VALU_DEP_2)
	v_cmp_eq_u64_e32 vcc_lo, s[4:5], v[6:7]
	v_cmp_eq_u64_e64 s0, s[6:7], v[8:9]
	s_delay_alu instid0(VALU_DEP_1) | instskip(NEXT) | instid1(SALU_CYCLE_1)
	s_and_b32 s0, vcc_lo, s0
	s_and_saveexec_b32 s0, s0
	buffer_store_b128 v[48:51], v16, s[4:7], 0 offen
                                        ; implicit-def: $vgpr48_vgpr49_vgpr50_vgpr51
                                        ; implicit-def: $vgpr16
	s_xor_b32 exec_lo, exec_lo, s0
	s_cbranch_execnz .LBB15_83
; %bb.84:
	s_mov_b32 exec_lo, s1
	s_clause 0x2
	flat_load_b32 v16, v[14:15] offset:32
	flat_load_b32 v17, v[14:15] offset:20
	;; [unrolled: 1-line block ×3, first 2 shown]
	s_mov_b32 s1, exec_lo
	s_waitcnt vmcnt(2) lgkmcnt(2)
	v_cmp_gt_i32_e32 vcc_lo, v16, v39
	s_waitcnt vmcnt(1) lgkmcnt(1)
	v_cmp_gt_i32_e64 s0, v17, v5
	s_waitcnt vmcnt(0) lgkmcnt(0)
	v_lshl_add_u32 v4, v18, 6, v4
	s_delay_alu instid0(VALU_DEP_2) | instskip(NEXT) | instid1(SALU_CYCLE_1)
	s_and_b32 s0, s0, vcc_lo
	v_cndmask_b32_e64 v16, 0x80000000, 0, s0
	s_delay_alu instid0(VALU_DEP_1)
	v_lshl_add_u32 v16, v4, 2, v16
.LBB15_85:                              ; =>This Inner Loop Header: Depth=1
	v_readfirstlane_b32 s4, v6
	v_readfirstlane_b32 s5, v7
	;; [unrolled: 1-line block ×4, first 2 shown]
	s_delay_alu instid0(VALU_DEP_3) | instskip(NEXT) | instid1(VALU_DEP_2)
	v_cmp_eq_u64_e32 vcc_lo, s[4:5], v[6:7]
	v_cmp_eq_u64_e64 s0, s[6:7], v[8:9]
	s_delay_alu instid0(VALU_DEP_1) | instskip(NEXT) | instid1(SALU_CYCLE_1)
	s_and_b32 s0, vcc_lo, s0
	s_and_saveexec_b32 s0, s0
	buffer_store_b128 v[64:67], v16, s[4:7], 0 offen
                                        ; implicit-def: $vgpr64_vgpr65_vgpr66_vgpr67
                                        ; implicit-def: $vgpr16
	s_xor_b32 exec_lo, exec_lo, s0
	s_cbranch_execnz .LBB15_85
; %bb.86:
	s_mov_b32 exec_lo, s1
	s_clause 0x2
	flat_load_b32 v16, v[14:15] offset:8
	flat_load_b32 v17, v[14:15] offset:32
	;; [unrolled: 1-line block ×3, first 2 shown]
	s_mov_b32 s1, exec_lo
	s_waitcnt vmcnt(2) lgkmcnt(2)
	v_sub_nc_u32_e32 v4, v4, v16
	s_waitcnt vmcnt(1) lgkmcnt(1)
	v_cmp_gt_i32_e32 vcc_lo, v17, v39
	s_waitcnt vmcnt(0) lgkmcnt(0)
	v_cmp_ge_i32_e64 s0, v18, v5
	v_lshlrev_b32_e32 v4, 2, v4
	s_delay_alu instid0(VALU_DEP_2) | instskip(NEXT) | instid1(SALU_CYCLE_1)
	s_and_b32 s0, s0, vcc_lo
	v_cndmask_b32_e64 v5, 0x80000000, 0, s0
	s_delay_alu instid0(VALU_DEP_1)
	v_add_nc_u32_e32 v5, v5, v4
.LBB15_87:                              ; =>This Inner Loop Header: Depth=1
	v_readfirstlane_b32 s4, v6
	v_readfirstlane_b32 s5, v7
	v_readfirstlane_b32 s6, v8
	v_readfirstlane_b32 s7, v9
	s_delay_alu instid0(VALU_DEP_3) | instskip(NEXT) | instid1(VALU_DEP_2)
	v_cmp_eq_u64_e32 vcc_lo, s[4:5], v[6:7]
	v_cmp_eq_u64_e64 s0, s[6:7], v[8:9]
	s_delay_alu instid0(VALU_DEP_1) | instskip(NEXT) | instid1(SALU_CYCLE_1)
	s_and_b32 s0, vcc_lo, s0
	s_and_saveexec_b32 s0, s0
	buffer_store_b128 v[10:13], v5, s[4:7], 0 offen
                                        ; implicit-def: $vgpr10_vgpr11_vgpr12_vgpr13
                                        ; implicit-def: $vgpr5
	s_xor_b32 exec_lo, exec_lo, s0
	s_cbranch_execnz .LBB15_87
; %bb.88:
	s_mov_b32 exec_lo, s1
	s_clause 0x2
	flat_load_b32 v5, v[14:15] offset:32
	flat_load_b32 v10, v[14:15] offset:12
	;; [unrolled: 1-line block ×3, first 2 shown]
	s_mov_b32 s1, exec_lo
	s_waitcnt vmcnt(2) lgkmcnt(2)
	v_cmp_gt_i32_e32 vcc_lo, v5, v38
	s_waitcnt vmcnt(1) lgkmcnt(1)
	v_lshlrev_b32_e32 v5, 8, v10
	s_waitcnt vmcnt(0) lgkmcnt(0)
	v_cmp_gt_i32_e64 s0, v11, v148
	s_delay_alu instid0(VALU_DEP_2) | instskip(NEXT) | instid1(VALU_DEP_2)
	v_sub_nc_u32_e32 v4, v4, v5
	s_and_b32 s0, s0, vcc_lo
	s_delay_alu instid0(SALU_CYCLE_1) | instskip(NEXT) | instid1(VALU_DEP_1)
	v_cndmask_b32_e64 v5, 0x80000000, 0, s0
	v_add_nc_u32_e32 v4, v4, v5
.LBB15_89:                              ; =>This Inner Loop Header: Depth=1
	v_readfirstlane_b32 s4, v6
	v_readfirstlane_b32 s5, v7
	;; [unrolled: 1-line block ×4, first 2 shown]
	s_delay_alu instid0(VALU_DEP_3) | instskip(NEXT) | instid1(VALU_DEP_2)
	v_cmp_eq_u64_e32 vcc_lo, s[4:5], v[6:7]
	v_cmp_eq_u64_e64 s0, s[6:7], v[8:9]
	s_delay_alu instid0(VALU_DEP_1) | instskip(NEXT) | instid1(SALU_CYCLE_1)
	s_and_b32 s0, vcc_lo, s0
	s_and_saveexec_b32 s0, s0
	buffer_store_b128 v[0:3], v4, s[4:7], 0 offen
                                        ; implicit-def: $vgpr6_vgpr7_vgpr8_vgpr9
                                        ; implicit-def: $vgpr0_vgpr1_vgpr2_vgpr3
                                        ; implicit-def: $vgpr4
	s_xor_b32 exec_lo, exec_lo, s0
	s_cbranch_execnz .LBB15_89
; %bb.90:
	s_mov_b32 exec_lo, s1
	s_setpc_b64 s[30:31]
.Lfunc_end15:
	.size	_ZN2ck32GridwiseGemmDlMultipleD_km_kn_mnILi256EffNS_5TupleIJfEEEfNS_16tensor_operation12element_wise11PassThroughES5_NS4_7AddReluELNS_25InMemoryDataOperationEnumE0ENS_16TensorDescriptorINS1_IJNS_5EmbedINS1_IJiiiiiEEESA_Lb0EEENS_11PassThroughIiEENS_3PadIiiiLb0EEESF_SF_SD_SD_NS9_INS1_IJiiEEESG_Lb0EEESH_SH_SD_NS_23Merge_v2_magic_divisionINS1_IJiiiiEEEEESK_NS_8RightPadIiiLb0EEESM_NS_7UnMergeISG_Lb0EEESD_EEENS1_IJNS_8SequenceIJLi0EEEENSQ_IJLi1EEEENSQ_IJLi2EEEENSQ_IJLi3EEEENSQ_IJLi4EEEENSQ_IJLi5EEEENSQ_IJLi6EEEENSQ_IJLi7EEEENSQ_IJLi8EEEENSQ_IJLi9EEEENSQ_IJLi10EEEENSQ_IJLi11ELi13ELi15ELi17EEEENSQ_IJLi12ELi14ELi16ELi18EEEENSQ_IJLi19EEEENSQ_IJLi20EEEENSQ_IJLi22EEEENSQ_IJLi21EEEEEEENS1_IJNSQ_IJLi1ELi2ELi3ELi4ELi5EEEESX_SY_SZ_S10_S11_NSQ_IJLi11EEEENSQ_IJLi12ELi13EEEENSQ_IJLi14ELi15EEEENSQ_IJLi16ELi17EEEENSQ_IJLi18EEEES14_S15_S17_S16_NSQ_IJLi23ELi24EEEENSQ_IJLi25EEEEEEENSQ_IJLi23ELi25ELi24EEEElEENS8_INS1_IJSO_SM_SM_SO_SD_EEENS1_IJSR_SS_ST_SV_SU_EEENS1_IJNSQ_IJLi1ELi2EEEESU_SV_NSQ_IJLi5ELi6EEEESY_EEENSQ_IJLi5ELi7ELi6EEEElEENS8_INS1_IJSH_SM_SM_EEENS1_IJSR_SS_ST_EEENS1_IJS1M_SU_SV_EEENSQ_IJLi3ELi4EEEElEELi128ELi128ELi16ELi1ELi4ELi4ELi1ENSQ_IJLi8ELi2EEEES1W_NSQ_IJLi8ELi1ELi1ELi1EEEENSQ_IJLi2ELi1ELi128ELi1EEEENSQ_IJLi1ELi2ELi0ELi3EEEES1Z_NSQ_IJLi4ELi1ELi1ELi1EEEES1Z_NSQ_IJLi1ELi1ELi1ELi1EEEES1X_S1Y_S1Z_S1Z_S20_S1Z_S21_NSQ_IJLi0ELi1ELi2ELi3ELi4ELi5EEEELi5ELi4EE3RunINS1_IJNS8_INS1_IJSH_SM_SM_NSN_INS1_IJiNS_17integral_constantIiLi2EEENS25_IiLi64EEEEEELb0EEES29_EEENS1_IJSR_SS_ST_SU_SV_EEENS1_IJS1M_SU_SV_NSQ_IJLi5ELi6ELi7EEEENSQ_IJLi8ELi9ELi10EEEEEEENSQ_IJLi5ELi6ELi7ELi8ELi9ELi10EEEElEEEEELb1ELb0ENS_31BlockToCTileMap_M00_N00_M01_N01ILi128ELi128ES1V_Lb0EEEEEvPKfS2L_NS1_IJS2L_EEEPfPvRKS5_S2Q_RKS6_RKNS8_INS1_IJSB_SD_SF_SF_SF_SD_SD_SH_SH_SH_SD_SK_SK_SM_SM_SO_SD_SD_NSN_INS1_IJiNS25_IiLi128EEEEEELb0EEENSC_INS25_IiLi1EEEEEEEENS1_IJSR_SS_ST_SU_SV_SW_SX_SY_SZ_S10_S11_S12_S13_S14_S15_S16_S17_NSQ_IJLi23EEEES1G_NSQ_IJLi24EEEEEEENS1_IJS19_SX_SY_SZ_S10_S11_S1A_S1B_S1C_S1D_S1E_S14_S15_S17_S16_S1F_S1G_NSQ_IJLi26EEEENSQ_IJLi27ELi28EEEENSQ_IJLi29EEEEEEENSQ_IJLi26ELi27ELi28ELi29EEEElEERKNS8_INS1_IJSO_SM_SM_SO_SD_SD_S2V_S2X_EEENS1_IJSR_SS_ST_SV_SU_SW_SY_SX_EEENS1_IJS1M_SU_SV_S1N_SY_SZ_NSQ_IJLi9ELi10EEEES1A_EEENSQ_IJLi8ELi9ELi10ELi11EEEElEERKT_RKS2G_RKT2_NS25_IbXT0_EEENS25_IbXT1_EEE, .Lfunc_end15-_ZN2ck32GridwiseGemmDlMultipleD_km_kn_mnILi256EffNS_5TupleIJfEEEfNS_16tensor_operation12element_wise11PassThroughES5_NS4_7AddReluELNS_25InMemoryDataOperationEnumE0ENS_16TensorDescriptorINS1_IJNS_5EmbedINS1_IJiiiiiEEESA_Lb0EEENS_11PassThroughIiEENS_3PadIiiiLb0EEESF_SF_SD_SD_NS9_INS1_IJiiEEESG_Lb0EEESH_SH_SD_NS_23Merge_v2_magic_divisionINS1_IJiiiiEEEEESK_NS_8RightPadIiiLb0EEESM_NS_7UnMergeISG_Lb0EEESD_EEENS1_IJNS_8SequenceIJLi0EEEENSQ_IJLi1EEEENSQ_IJLi2EEEENSQ_IJLi3EEEENSQ_IJLi4EEEENSQ_IJLi5EEEENSQ_IJLi6EEEENSQ_IJLi7EEEENSQ_IJLi8EEEENSQ_IJLi9EEEENSQ_IJLi10EEEENSQ_IJLi11ELi13ELi15ELi17EEEENSQ_IJLi12ELi14ELi16ELi18EEEENSQ_IJLi19EEEENSQ_IJLi20EEEENSQ_IJLi22EEEENSQ_IJLi21EEEEEEENS1_IJNSQ_IJLi1ELi2ELi3ELi4ELi5EEEESX_SY_SZ_S10_S11_NSQ_IJLi11EEEENSQ_IJLi12ELi13EEEENSQ_IJLi14ELi15EEEENSQ_IJLi16ELi17EEEENSQ_IJLi18EEEES14_S15_S17_S16_NSQ_IJLi23ELi24EEEENSQ_IJLi25EEEEEEENSQ_IJLi23ELi25ELi24EEEElEENS8_INS1_IJSO_SM_SM_SO_SD_EEENS1_IJSR_SS_ST_SV_SU_EEENS1_IJNSQ_IJLi1ELi2EEEESU_SV_NSQ_IJLi5ELi6EEEESY_EEENSQ_IJLi5ELi7ELi6EEEElEENS8_INS1_IJSH_SM_SM_EEENS1_IJSR_SS_ST_EEENS1_IJS1M_SU_SV_EEENSQ_IJLi3ELi4EEEElEELi128ELi128ELi16ELi1ELi4ELi4ELi1ENSQ_IJLi8ELi2EEEES1W_NSQ_IJLi8ELi1ELi1ELi1EEEENSQ_IJLi2ELi1ELi128ELi1EEEENSQ_IJLi1ELi2ELi0ELi3EEEES1Z_NSQ_IJLi4ELi1ELi1ELi1EEEES1Z_NSQ_IJLi1ELi1ELi1ELi1EEEES1X_S1Y_S1Z_S1Z_S20_S1Z_S21_NSQ_IJLi0ELi1ELi2ELi3ELi4ELi5EEEELi5ELi4EE3RunINS1_IJNS8_INS1_IJSH_SM_SM_NSN_INS1_IJiNS_17integral_constantIiLi2EEENS25_IiLi64EEEEEELb0EEES29_EEENS1_IJSR_SS_ST_SU_SV_EEENS1_IJS1M_SU_SV_NSQ_IJLi5ELi6ELi7EEEENSQ_IJLi8ELi9ELi10EEEEEEENSQ_IJLi5ELi6ELi7ELi8ELi9ELi10EEEElEEEEELb1ELb0ENS_31BlockToCTileMap_M00_N00_M01_N01ILi128ELi128ES1V_Lb0EEEEEvPKfS2L_NS1_IJS2L_EEEPfPvRKS5_S2Q_RKS6_RKNS8_INS1_IJSB_SD_SF_SF_SF_SD_SD_SH_SH_SH_SD_SK_SK_SM_SM_SO_SD_SD_NSN_INS1_IJiNS25_IiLi128EEEEEELb0EEENSC_INS25_IiLi1EEEEEEEENS1_IJSR_SS_ST_SU_SV_SW_SX_SY_SZ_S10_S11_S12_S13_S14_S15_S16_S17_NSQ_IJLi23EEEES1G_NSQ_IJLi24EEEEEEENS1_IJS19_SX_SY_SZ_S10_S11_S1A_S1B_S1C_S1D_S1E_S14_S15_S17_S16_S1F_S1G_NSQ_IJLi26EEEENSQ_IJLi27ELi28EEEENSQ_IJLi29EEEEEEENSQ_IJLi26ELi27ELi28ELi29EEEElEERKNS8_INS1_IJSO_SM_SM_SO_SD_SD_S2V_S2X_EEENS1_IJSR_SS_ST_SV_SU_SW_SY_SX_EEENS1_IJS1M_SU_SV_S1N_SY_SZ_NSQ_IJLi9ELi10EEEES1A_EEENSQ_IJLi8ELi9ELi10ELi11EEEElEERKT_RKS2G_RKT2_NS25_IbXT0_EEENS25_IbXT1_EEE
                                        ; -- End function
	.section	.AMDGPU.csdata,"",@progbits
; Function info:
; codeLenInByte = 74056
; NumSgprs: 34
; NumVgprs: 246
; ScratchSize: 0
; MemoryBound: 0
	.section	.text._ZN2ck16tensor_operation6device12_GLOBAL__N_137kernel_grouped_conv_fwd_dl_multiple_dINS_32GridwiseGemmDlMultipleD_km_kn_mnILi256EffNS_5TupleIJfEEEfNS0_12element_wise11PassThroughES8_NS7_7AddReluELNS_25InMemoryDataOperationEnumE0ENS_16TensorDescriptorINS5_IJNS_5EmbedINS5_IJiiiiiEEESD_Lb0EEENS_11PassThroughIiEENS_3PadIiiiLb0EEESI_SI_SG_SG_NSC_INS5_IJiiEEESJ_Lb0EEESK_SK_SG_NS_23Merge_v2_magic_divisionINS5_IJiiiiEEEEESN_NS_8RightPadIiiLb0EEESP_NS_7UnMergeISJ_Lb0EEESG_EEENS5_IJNS_8SequenceIJLi0EEEENST_IJLi1EEEENST_IJLi2EEEENST_IJLi3EEEENST_IJLi4EEEENST_IJLi5EEEENST_IJLi6EEEENST_IJLi7EEEENST_IJLi8EEEENST_IJLi9EEEENST_IJLi10EEEENST_IJLi11ELi13ELi15ELi17EEEENST_IJLi12ELi14ELi16ELi18EEEENST_IJLi19EEEENST_IJLi20EEEENST_IJLi22EEEENST_IJLi21EEEEEEENS5_IJNST_IJLi1ELi2ELi3ELi4ELi5EEEES10_S11_S12_S13_S14_NST_IJLi11EEEENST_IJLi12ELi13EEEENST_IJLi14ELi15EEEENST_IJLi16ELi17EEEENST_IJLi18EEEES17_S18_S1A_S19_NST_IJLi23ELi24EEEENST_IJLi25EEEEEEENST_IJLi23ELi25ELi24EEEElEENSB_INS5_IJSR_SP_SP_SR_SG_EEENS5_IJSU_SV_SW_SY_SX_EEENS5_IJNST_IJLi1ELi2EEEESX_SY_NST_IJLi5ELi6EEEES11_EEENST_IJLi5ELi7ELi6EEEElEENSB_INS5_IJSK_SP_SP_EEENS5_IJSU_SV_SW_EEENS5_IJS1P_SX_SY_EEENST_IJLi3ELi4EEEElEELi128ELi128ELi16ELi1ELi4ELi4ELi1ENST_IJLi8ELi2EEEES1Z_NST_IJLi8ELi1ELi1ELi1EEEENST_IJLi2ELi1ELi128ELi1EEEENST_IJLi1ELi2ELi0ELi3EEEES22_NST_IJLi4ELi1ELi1ELi1EEEES22_NST_IJLi1ELi1ELi1ELi1EEEES20_S21_S22_S22_S23_S22_S24_NST_IJLi0ELi1ELi2ELi3ELi4ELi5EEEELi5ELi4EEEfNS5_IJPKfEEEfS8_S8_S9_NSB_INS5_IJSE_SG_SI_SI_SI_SG_SG_SK_SK_SK_SG_SN_SN_SP_SP_SR_SG_SG_NSQ_INS5_IJiNS_17integral_constantIiLi128EEEEEELb0EEENSF_INS2A_IiLi1EEEEEEEENS5_IJSU_SV_SW_SX_SY_SZ_S10_S11_S12_S13_S14_S15_S16_S17_S18_S19_S1A_NST_IJLi23EEEES1J_NST_IJLi24EEEEEEENS5_IJS1C_S10_S11_S12_S13_S14_S1D_S1E_S1F_S1G_S1H_S17_S18_S1A_S19_S1I_S1J_NST_IJLi26EEEENST_IJLi27ELi28EEEENST_IJLi29EEEEEEENST_IJLi26ELi27ELi28ELi29EEEElEENSB_INS5_IJSR_SP_SP_SR_SG_SG_S2D_S2F_EEENS5_IJSU_SV_SW_SY_SX_SZ_S11_S10_EEENS5_IJS1P_SX_SY_S1Q_S11_S12_NST_IJLi9ELi10EEEES1D_EEENST_IJLi8ELi9ELi10ELi11EEEElEENS5_IJNSB_INS5_IJSK_SP_SP_NSQ_INS5_IJiNS2A_IiLi2EEENS2A_IiLi64EEEEEELb0EEES2Z_EEENS5_IJSU_SV_SW_SX_SY_EEENS5_IJS1P_SX_SY_NST_IJLi5ELi6ELi7EEEENST_IJLi8ELi9ELi10EEEEEEENST_IJLi5ELi6ELi7ELi8ELi9ELi10EEEElEEEEES36_NS_31BlockToCTileMap_M00_N00_M01_N01ILi128ELi128ES1Y_Lb0EEENS1_30ComputePtrOffsetOfStridedBatchILi1ELi1ELi1EvEELb1ELb0EEEvPKT0_S3E_T1_PT2_T3_T4_T5_iT6_T7_T8_T9_T10_T11_,"axG",@progbits,_ZN2ck16tensor_operation6device12_GLOBAL__N_137kernel_grouped_conv_fwd_dl_multiple_dINS_32GridwiseGemmDlMultipleD_km_kn_mnILi256EffNS_5TupleIJfEEEfNS0_12element_wise11PassThroughES8_NS7_7AddReluELNS_25InMemoryDataOperationEnumE0ENS_16TensorDescriptorINS5_IJNS_5EmbedINS5_IJiiiiiEEESD_Lb0EEENS_11PassThroughIiEENS_3PadIiiiLb0EEESI_SI_SG_SG_NSC_INS5_IJiiEEESJ_Lb0EEESK_SK_SG_NS_23Merge_v2_magic_divisionINS5_IJiiiiEEEEESN_NS_8RightPadIiiLb0EEESP_NS_7UnMergeISJ_Lb0EEESG_EEENS5_IJNS_8SequenceIJLi0EEEENST_IJLi1EEEENST_IJLi2EEEENST_IJLi3EEEENST_IJLi4EEEENST_IJLi5EEEENST_IJLi6EEEENST_IJLi7EEEENST_IJLi8EEEENST_IJLi9EEEENST_IJLi10EEEENST_IJLi11ELi13ELi15ELi17EEEENST_IJLi12ELi14ELi16ELi18EEEENST_IJLi19EEEENST_IJLi20EEEENST_IJLi22EEEENST_IJLi21EEEEEEENS5_IJNST_IJLi1ELi2ELi3ELi4ELi5EEEES10_S11_S12_S13_S14_NST_IJLi11EEEENST_IJLi12ELi13EEEENST_IJLi14ELi15EEEENST_IJLi16ELi17EEEENST_IJLi18EEEES17_S18_S1A_S19_NST_IJLi23ELi24EEEENST_IJLi25EEEEEEENST_IJLi23ELi25ELi24EEEElEENSB_INS5_IJSR_SP_SP_SR_SG_EEENS5_IJSU_SV_SW_SY_SX_EEENS5_IJNST_IJLi1ELi2EEEESX_SY_NST_IJLi5ELi6EEEES11_EEENST_IJLi5ELi7ELi6EEEElEENSB_INS5_IJSK_SP_SP_EEENS5_IJSU_SV_SW_EEENS5_IJS1P_SX_SY_EEENST_IJLi3ELi4EEEElEELi128ELi128ELi16ELi1ELi4ELi4ELi1ENST_IJLi8ELi2EEEES1Z_NST_IJLi8ELi1ELi1ELi1EEEENST_IJLi2ELi1ELi128ELi1EEEENST_IJLi1ELi2ELi0ELi3EEEES22_NST_IJLi4ELi1ELi1ELi1EEEES22_NST_IJLi1ELi1ELi1ELi1EEEES20_S21_S22_S22_S23_S22_S24_NST_IJLi0ELi1ELi2ELi3ELi4ELi5EEEELi5ELi4EEEfNS5_IJPKfEEEfS8_S8_S9_NSB_INS5_IJSE_SG_SI_SI_SI_SG_SG_SK_SK_SK_SG_SN_SN_SP_SP_SR_SG_SG_NSQ_INS5_IJiNS_17integral_constantIiLi128EEEEEELb0EEENSF_INS2A_IiLi1EEEEEEEENS5_IJSU_SV_SW_SX_SY_SZ_S10_S11_S12_S13_S14_S15_S16_S17_S18_S19_S1A_NST_IJLi23EEEES1J_NST_IJLi24EEEEEEENS5_IJS1C_S10_S11_S12_S13_S14_S1D_S1E_S1F_S1G_S1H_S17_S18_S1A_S19_S1I_S1J_NST_IJLi26EEEENST_IJLi27ELi28EEEENST_IJLi29EEEEEEENST_IJLi26ELi27ELi28ELi29EEEElEENSB_INS5_IJSR_SP_SP_SR_SG_SG_S2D_S2F_EEENS5_IJSU_SV_SW_SY_SX_SZ_S11_S10_EEENS5_IJS1P_SX_SY_S1Q_S11_S12_NST_IJLi9ELi10EEEES1D_EEENST_IJLi8ELi9ELi10ELi11EEEElEENS5_IJNSB_INS5_IJSK_SP_SP_NSQ_INS5_IJiNS2A_IiLi2EEENS2A_IiLi64EEEEEELb0EEES2Z_EEENS5_IJSU_SV_SW_SX_SY_EEENS5_IJS1P_SX_SY_NST_IJLi5ELi6ELi7EEEENST_IJLi8ELi9ELi10EEEEEEENST_IJLi5ELi6ELi7ELi8ELi9ELi10EEEElEEEEES36_NS_31BlockToCTileMap_M00_N00_M01_N01ILi128ELi128ES1Y_Lb0EEENS1_30ComputePtrOffsetOfStridedBatchILi1ELi1ELi1EvEELb1ELb0EEEvPKT0_S3E_T1_PT2_T3_T4_T5_iT6_T7_T8_T9_T10_T11_,comdat
	.globl	_ZN2ck16tensor_operation6device12_GLOBAL__N_137kernel_grouped_conv_fwd_dl_multiple_dINS_32GridwiseGemmDlMultipleD_km_kn_mnILi256EffNS_5TupleIJfEEEfNS0_12element_wise11PassThroughES8_NS7_7AddReluELNS_25InMemoryDataOperationEnumE0ENS_16TensorDescriptorINS5_IJNS_5EmbedINS5_IJiiiiiEEESD_Lb0EEENS_11PassThroughIiEENS_3PadIiiiLb0EEESI_SI_SG_SG_NSC_INS5_IJiiEEESJ_Lb0EEESK_SK_SG_NS_23Merge_v2_magic_divisionINS5_IJiiiiEEEEESN_NS_8RightPadIiiLb0EEESP_NS_7UnMergeISJ_Lb0EEESG_EEENS5_IJNS_8SequenceIJLi0EEEENST_IJLi1EEEENST_IJLi2EEEENST_IJLi3EEEENST_IJLi4EEEENST_IJLi5EEEENST_IJLi6EEEENST_IJLi7EEEENST_IJLi8EEEENST_IJLi9EEEENST_IJLi10EEEENST_IJLi11ELi13ELi15ELi17EEEENST_IJLi12ELi14ELi16ELi18EEEENST_IJLi19EEEENST_IJLi20EEEENST_IJLi22EEEENST_IJLi21EEEEEEENS5_IJNST_IJLi1ELi2ELi3ELi4ELi5EEEES10_S11_S12_S13_S14_NST_IJLi11EEEENST_IJLi12ELi13EEEENST_IJLi14ELi15EEEENST_IJLi16ELi17EEEENST_IJLi18EEEES17_S18_S1A_S19_NST_IJLi23ELi24EEEENST_IJLi25EEEEEEENST_IJLi23ELi25ELi24EEEElEENSB_INS5_IJSR_SP_SP_SR_SG_EEENS5_IJSU_SV_SW_SY_SX_EEENS5_IJNST_IJLi1ELi2EEEESX_SY_NST_IJLi5ELi6EEEES11_EEENST_IJLi5ELi7ELi6EEEElEENSB_INS5_IJSK_SP_SP_EEENS5_IJSU_SV_SW_EEENS5_IJS1P_SX_SY_EEENST_IJLi3ELi4EEEElEELi128ELi128ELi16ELi1ELi4ELi4ELi1ENST_IJLi8ELi2EEEES1Z_NST_IJLi8ELi1ELi1ELi1EEEENST_IJLi2ELi1ELi128ELi1EEEENST_IJLi1ELi2ELi0ELi3EEEES22_NST_IJLi4ELi1ELi1ELi1EEEES22_NST_IJLi1ELi1ELi1ELi1EEEES20_S21_S22_S22_S23_S22_S24_NST_IJLi0ELi1ELi2ELi3ELi4ELi5EEEELi5ELi4EEEfNS5_IJPKfEEEfS8_S8_S9_NSB_INS5_IJSE_SG_SI_SI_SI_SG_SG_SK_SK_SK_SG_SN_SN_SP_SP_SR_SG_SG_NSQ_INS5_IJiNS_17integral_constantIiLi128EEEEEELb0EEENSF_INS2A_IiLi1EEEEEEEENS5_IJSU_SV_SW_SX_SY_SZ_S10_S11_S12_S13_S14_S15_S16_S17_S18_S19_S1A_NST_IJLi23EEEES1J_NST_IJLi24EEEEEEENS5_IJS1C_S10_S11_S12_S13_S14_S1D_S1E_S1F_S1G_S1H_S17_S18_S1A_S19_S1I_S1J_NST_IJLi26EEEENST_IJLi27ELi28EEEENST_IJLi29EEEEEEENST_IJLi26ELi27ELi28ELi29EEEElEENSB_INS5_IJSR_SP_SP_SR_SG_SG_S2D_S2F_EEENS5_IJSU_SV_SW_SY_SX_SZ_S11_S10_EEENS5_IJS1P_SX_SY_S1Q_S11_S12_NST_IJLi9ELi10EEEES1D_EEENST_IJLi8ELi9ELi10ELi11EEEElEENS5_IJNSB_INS5_IJSK_SP_SP_NSQ_INS5_IJiNS2A_IiLi2EEENS2A_IiLi64EEEEEELb0EEES2Z_EEENS5_IJSU_SV_SW_SX_SY_EEENS5_IJS1P_SX_SY_NST_IJLi5ELi6ELi7EEEENST_IJLi8ELi9ELi10EEEEEEENST_IJLi5ELi6ELi7ELi8ELi9ELi10EEEElEEEEES36_NS_31BlockToCTileMap_M00_N00_M01_N01ILi128ELi128ES1Y_Lb0EEENS1_30ComputePtrOffsetOfStridedBatchILi1ELi1ELi1EvEELb1ELb0EEEvPKT0_S3E_T1_PT2_T3_T4_T5_iT6_T7_T8_T9_T10_T11_ ; -- Begin function _ZN2ck16tensor_operation6device12_GLOBAL__N_137kernel_grouped_conv_fwd_dl_multiple_dINS_32GridwiseGemmDlMultipleD_km_kn_mnILi256EffNS_5TupleIJfEEEfNS0_12element_wise11PassThroughES8_NS7_7AddReluELNS_25InMemoryDataOperationEnumE0ENS_16TensorDescriptorINS5_IJNS_5EmbedINS5_IJiiiiiEEESD_Lb0EEENS_11PassThroughIiEENS_3PadIiiiLb0EEESI_SI_SG_SG_NSC_INS5_IJiiEEESJ_Lb0EEESK_SK_SG_NS_23Merge_v2_magic_divisionINS5_IJiiiiEEEEESN_NS_8RightPadIiiLb0EEESP_NS_7UnMergeISJ_Lb0EEESG_EEENS5_IJNS_8SequenceIJLi0EEEENST_IJLi1EEEENST_IJLi2EEEENST_IJLi3EEEENST_IJLi4EEEENST_IJLi5EEEENST_IJLi6EEEENST_IJLi7EEEENST_IJLi8EEEENST_IJLi9EEEENST_IJLi10EEEENST_IJLi11ELi13ELi15ELi17EEEENST_IJLi12ELi14ELi16ELi18EEEENST_IJLi19EEEENST_IJLi20EEEENST_IJLi22EEEENST_IJLi21EEEEEEENS5_IJNST_IJLi1ELi2ELi3ELi4ELi5EEEES10_S11_S12_S13_S14_NST_IJLi11EEEENST_IJLi12ELi13EEEENST_IJLi14ELi15EEEENST_IJLi16ELi17EEEENST_IJLi18EEEES17_S18_S1A_S19_NST_IJLi23ELi24EEEENST_IJLi25EEEEEEENST_IJLi23ELi25ELi24EEEElEENSB_INS5_IJSR_SP_SP_SR_SG_EEENS5_IJSU_SV_SW_SY_SX_EEENS5_IJNST_IJLi1ELi2EEEESX_SY_NST_IJLi5ELi6EEEES11_EEENST_IJLi5ELi7ELi6EEEElEENSB_INS5_IJSK_SP_SP_EEENS5_IJSU_SV_SW_EEENS5_IJS1P_SX_SY_EEENST_IJLi3ELi4EEEElEELi128ELi128ELi16ELi1ELi4ELi4ELi1ENST_IJLi8ELi2EEEES1Z_NST_IJLi8ELi1ELi1ELi1EEEENST_IJLi2ELi1ELi128ELi1EEEENST_IJLi1ELi2ELi0ELi3EEEES22_NST_IJLi4ELi1ELi1ELi1EEEES22_NST_IJLi1ELi1ELi1ELi1EEEES20_S21_S22_S22_S23_S22_S24_NST_IJLi0ELi1ELi2ELi3ELi4ELi5EEEELi5ELi4EEEfNS5_IJPKfEEEfS8_S8_S9_NSB_INS5_IJSE_SG_SI_SI_SI_SG_SG_SK_SK_SK_SG_SN_SN_SP_SP_SR_SG_SG_NSQ_INS5_IJiNS_17integral_constantIiLi128EEEEEELb0EEENSF_INS2A_IiLi1EEEEEEEENS5_IJSU_SV_SW_SX_SY_SZ_S10_S11_S12_S13_S14_S15_S16_S17_S18_S19_S1A_NST_IJLi23EEEES1J_NST_IJLi24EEEEEEENS5_IJS1C_S10_S11_S12_S13_S14_S1D_S1E_S1F_S1G_S1H_S17_S18_S1A_S19_S1I_S1J_NST_IJLi26EEEENST_IJLi27ELi28EEEENST_IJLi29EEEEEEENST_IJLi26ELi27ELi28ELi29EEEElEENSB_INS5_IJSR_SP_SP_SR_SG_SG_S2D_S2F_EEENS5_IJSU_SV_SW_SY_SX_SZ_S11_S10_EEENS5_IJS1P_SX_SY_S1Q_S11_S12_NST_IJLi9ELi10EEEES1D_EEENST_IJLi8ELi9ELi10ELi11EEEElEENS5_IJNSB_INS5_IJSK_SP_SP_NSQ_INS5_IJiNS2A_IiLi2EEENS2A_IiLi64EEEEEELb0EEES2Z_EEENS5_IJSU_SV_SW_SX_SY_EEENS5_IJS1P_SX_SY_NST_IJLi5ELi6ELi7EEEENST_IJLi8ELi9ELi10EEEEEEENST_IJLi5ELi6ELi7ELi8ELi9ELi10EEEElEEEEES36_NS_31BlockToCTileMap_M00_N00_M01_N01ILi128ELi128ES1Y_Lb0EEENS1_30ComputePtrOffsetOfStridedBatchILi1ELi1ELi1EvEELb1ELb0EEEvPKT0_S3E_T1_PT2_T3_T4_T5_iT6_T7_T8_T9_T10_T11_
	.p2align	8
	.type	_ZN2ck16tensor_operation6device12_GLOBAL__N_137kernel_grouped_conv_fwd_dl_multiple_dINS_32GridwiseGemmDlMultipleD_km_kn_mnILi256EffNS_5TupleIJfEEEfNS0_12element_wise11PassThroughES8_NS7_7AddReluELNS_25InMemoryDataOperationEnumE0ENS_16TensorDescriptorINS5_IJNS_5EmbedINS5_IJiiiiiEEESD_Lb0EEENS_11PassThroughIiEENS_3PadIiiiLb0EEESI_SI_SG_SG_NSC_INS5_IJiiEEESJ_Lb0EEESK_SK_SG_NS_23Merge_v2_magic_divisionINS5_IJiiiiEEEEESN_NS_8RightPadIiiLb0EEESP_NS_7UnMergeISJ_Lb0EEESG_EEENS5_IJNS_8SequenceIJLi0EEEENST_IJLi1EEEENST_IJLi2EEEENST_IJLi3EEEENST_IJLi4EEEENST_IJLi5EEEENST_IJLi6EEEENST_IJLi7EEEENST_IJLi8EEEENST_IJLi9EEEENST_IJLi10EEEENST_IJLi11ELi13ELi15ELi17EEEENST_IJLi12ELi14ELi16ELi18EEEENST_IJLi19EEEENST_IJLi20EEEENST_IJLi22EEEENST_IJLi21EEEEEEENS5_IJNST_IJLi1ELi2ELi3ELi4ELi5EEEES10_S11_S12_S13_S14_NST_IJLi11EEEENST_IJLi12ELi13EEEENST_IJLi14ELi15EEEENST_IJLi16ELi17EEEENST_IJLi18EEEES17_S18_S1A_S19_NST_IJLi23ELi24EEEENST_IJLi25EEEEEEENST_IJLi23ELi25ELi24EEEElEENSB_INS5_IJSR_SP_SP_SR_SG_EEENS5_IJSU_SV_SW_SY_SX_EEENS5_IJNST_IJLi1ELi2EEEESX_SY_NST_IJLi5ELi6EEEES11_EEENST_IJLi5ELi7ELi6EEEElEENSB_INS5_IJSK_SP_SP_EEENS5_IJSU_SV_SW_EEENS5_IJS1P_SX_SY_EEENST_IJLi3ELi4EEEElEELi128ELi128ELi16ELi1ELi4ELi4ELi1ENST_IJLi8ELi2EEEES1Z_NST_IJLi8ELi1ELi1ELi1EEEENST_IJLi2ELi1ELi128ELi1EEEENST_IJLi1ELi2ELi0ELi3EEEES22_NST_IJLi4ELi1ELi1ELi1EEEES22_NST_IJLi1ELi1ELi1ELi1EEEES20_S21_S22_S22_S23_S22_S24_NST_IJLi0ELi1ELi2ELi3ELi4ELi5EEEELi5ELi4EEEfNS5_IJPKfEEEfS8_S8_S9_NSB_INS5_IJSE_SG_SI_SI_SI_SG_SG_SK_SK_SK_SG_SN_SN_SP_SP_SR_SG_SG_NSQ_INS5_IJiNS_17integral_constantIiLi128EEEEEELb0EEENSF_INS2A_IiLi1EEEEEEEENS5_IJSU_SV_SW_SX_SY_SZ_S10_S11_S12_S13_S14_S15_S16_S17_S18_S19_S1A_NST_IJLi23EEEES1J_NST_IJLi24EEEEEEENS5_IJS1C_S10_S11_S12_S13_S14_S1D_S1E_S1F_S1G_S1H_S17_S18_S1A_S19_S1I_S1J_NST_IJLi26EEEENST_IJLi27ELi28EEEENST_IJLi29EEEEEEENST_IJLi26ELi27ELi28ELi29EEEElEENSB_INS5_IJSR_SP_SP_SR_SG_SG_S2D_S2F_EEENS5_IJSU_SV_SW_SY_SX_SZ_S11_S10_EEENS5_IJS1P_SX_SY_S1Q_S11_S12_NST_IJLi9ELi10EEEES1D_EEENST_IJLi8ELi9ELi10ELi11EEEElEENS5_IJNSB_INS5_IJSK_SP_SP_NSQ_INS5_IJiNS2A_IiLi2EEENS2A_IiLi64EEEEEELb0EEES2Z_EEENS5_IJSU_SV_SW_SX_SY_EEENS5_IJS1P_SX_SY_NST_IJLi5ELi6ELi7EEEENST_IJLi8ELi9ELi10EEEEEEENST_IJLi5ELi6ELi7ELi8ELi9ELi10EEEElEEEEES36_NS_31BlockToCTileMap_M00_N00_M01_N01ILi128ELi128ES1Y_Lb0EEENS1_30ComputePtrOffsetOfStridedBatchILi1ELi1ELi1EvEELb1ELb0EEEvPKT0_S3E_T1_PT2_T3_T4_T5_iT6_T7_T8_T9_T10_T11_,@function
_ZN2ck16tensor_operation6device12_GLOBAL__N_137kernel_grouped_conv_fwd_dl_multiple_dINS_32GridwiseGemmDlMultipleD_km_kn_mnILi256EffNS_5TupleIJfEEEfNS0_12element_wise11PassThroughES8_NS7_7AddReluELNS_25InMemoryDataOperationEnumE0ENS_16TensorDescriptorINS5_IJNS_5EmbedINS5_IJiiiiiEEESD_Lb0EEENS_11PassThroughIiEENS_3PadIiiiLb0EEESI_SI_SG_SG_NSC_INS5_IJiiEEESJ_Lb0EEESK_SK_SG_NS_23Merge_v2_magic_divisionINS5_IJiiiiEEEEESN_NS_8RightPadIiiLb0EEESP_NS_7UnMergeISJ_Lb0EEESG_EEENS5_IJNS_8SequenceIJLi0EEEENST_IJLi1EEEENST_IJLi2EEEENST_IJLi3EEEENST_IJLi4EEEENST_IJLi5EEEENST_IJLi6EEEENST_IJLi7EEEENST_IJLi8EEEENST_IJLi9EEEENST_IJLi10EEEENST_IJLi11ELi13ELi15ELi17EEEENST_IJLi12ELi14ELi16ELi18EEEENST_IJLi19EEEENST_IJLi20EEEENST_IJLi22EEEENST_IJLi21EEEEEEENS5_IJNST_IJLi1ELi2ELi3ELi4ELi5EEEES10_S11_S12_S13_S14_NST_IJLi11EEEENST_IJLi12ELi13EEEENST_IJLi14ELi15EEEENST_IJLi16ELi17EEEENST_IJLi18EEEES17_S18_S1A_S19_NST_IJLi23ELi24EEEENST_IJLi25EEEEEEENST_IJLi23ELi25ELi24EEEElEENSB_INS5_IJSR_SP_SP_SR_SG_EEENS5_IJSU_SV_SW_SY_SX_EEENS5_IJNST_IJLi1ELi2EEEESX_SY_NST_IJLi5ELi6EEEES11_EEENST_IJLi5ELi7ELi6EEEElEENSB_INS5_IJSK_SP_SP_EEENS5_IJSU_SV_SW_EEENS5_IJS1P_SX_SY_EEENST_IJLi3ELi4EEEElEELi128ELi128ELi16ELi1ELi4ELi4ELi1ENST_IJLi8ELi2EEEES1Z_NST_IJLi8ELi1ELi1ELi1EEEENST_IJLi2ELi1ELi128ELi1EEEENST_IJLi1ELi2ELi0ELi3EEEES22_NST_IJLi4ELi1ELi1ELi1EEEES22_NST_IJLi1ELi1ELi1ELi1EEEES20_S21_S22_S22_S23_S22_S24_NST_IJLi0ELi1ELi2ELi3ELi4ELi5EEEELi5ELi4EEEfNS5_IJPKfEEEfS8_S8_S9_NSB_INS5_IJSE_SG_SI_SI_SI_SG_SG_SK_SK_SK_SG_SN_SN_SP_SP_SR_SG_SG_NSQ_INS5_IJiNS_17integral_constantIiLi128EEEEEELb0EEENSF_INS2A_IiLi1EEEEEEEENS5_IJSU_SV_SW_SX_SY_SZ_S10_S11_S12_S13_S14_S15_S16_S17_S18_S19_S1A_NST_IJLi23EEEES1J_NST_IJLi24EEEEEEENS5_IJS1C_S10_S11_S12_S13_S14_S1D_S1E_S1F_S1G_S1H_S17_S18_S1A_S19_S1I_S1J_NST_IJLi26EEEENST_IJLi27ELi28EEEENST_IJLi29EEEEEEENST_IJLi26ELi27ELi28ELi29EEEElEENSB_INS5_IJSR_SP_SP_SR_SG_SG_S2D_S2F_EEENS5_IJSU_SV_SW_SY_SX_SZ_S11_S10_EEENS5_IJS1P_SX_SY_S1Q_S11_S12_NST_IJLi9ELi10EEEES1D_EEENST_IJLi8ELi9ELi10ELi11EEEElEENS5_IJNSB_INS5_IJSK_SP_SP_NSQ_INS5_IJiNS2A_IiLi2EEENS2A_IiLi64EEEEEELb0EEES2Z_EEENS5_IJSU_SV_SW_SX_SY_EEENS5_IJS1P_SX_SY_NST_IJLi5ELi6ELi7EEEENST_IJLi8ELi9ELi10EEEEEEENST_IJLi5ELi6ELi7ELi8ELi9ELi10EEEElEEEEES36_NS_31BlockToCTileMap_M00_N00_M01_N01ILi128ELi128ES1Y_Lb0EEENS1_30ComputePtrOffsetOfStridedBatchILi1ELi1ELi1EvEELb1ELb0EEEvPKT0_S3E_T1_PT2_T3_T4_T5_iT6_T7_T8_T9_T10_T11_: ; @_ZN2ck16tensor_operation6device12_GLOBAL__N_137kernel_grouped_conv_fwd_dl_multiple_dINS_32GridwiseGemmDlMultipleD_km_kn_mnILi256EffNS_5TupleIJfEEEfNS0_12element_wise11PassThroughES8_NS7_7AddReluELNS_25InMemoryDataOperationEnumE0ENS_16TensorDescriptorINS5_IJNS_5EmbedINS5_IJiiiiiEEESD_Lb0EEENS_11PassThroughIiEENS_3PadIiiiLb0EEESI_SI_SG_SG_NSC_INS5_IJiiEEESJ_Lb0EEESK_SK_SG_NS_23Merge_v2_magic_divisionINS5_IJiiiiEEEEESN_NS_8RightPadIiiLb0EEESP_NS_7UnMergeISJ_Lb0EEESG_EEENS5_IJNS_8SequenceIJLi0EEEENST_IJLi1EEEENST_IJLi2EEEENST_IJLi3EEEENST_IJLi4EEEENST_IJLi5EEEENST_IJLi6EEEENST_IJLi7EEEENST_IJLi8EEEENST_IJLi9EEEENST_IJLi10EEEENST_IJLi11ELi13ELi15ELi17EEEENST_IJLi12ELi14ELi16ELi18EEEENST_IJLi19EEEENST_IJLi20EEEENST_IJLi22EEEENST_IJLi21EEEEEEENS5_IJNST_IJLi1ELi2ELi3ELi4ELi5EEEES10_S11_S12_S13_S14_NST_IJLi11EEEENST_IJLi12ELi13EEEENST_IJLi14ELi15EEEENST_IJLi16ELi17EEEENST_IJLi18EEEES17_S18_S1A_S19_NST_IJLi23ELi24EEEENST_IJLi25EEEEEEENST_IJLi23ELi25ELi24EEEElEENSB_INS5_IJSR_SP_SP_SR_SG_EEENS5_IJSU_SV_SW_SY_SX_EEENS5_IJNST_IJLi1ELi2EEEESX_SY_NST_IJLi5ELi6EEEES11_EEENST_IJLi5ELi7ELi6EEEElEENSB_INS5_IJSK_SP_SP_EEENS5_IJSU_SV_SW_EEENS5_IJS1P_SX_SY_EEENST_IJLi3ELi4EEEElEELi128ELi128ELi16ELi1ELi4ELi4ELi1ENST_IJLi8ELi2EEEES1Z_NST_IJLi8ELi1ELi1ELi1EEEENST_IJLi2ELi1ELi128ELi1EEEENST_IJLi1ELi2ELi0ELi3EEEES22_NST_IJLi4ELi1ELi1ELi1EEEES22_NST_IJLi1ELi1ELi1ELi1EEEES20_S21_S22_S22_S23_S22_S24_NST_IJLi0ELi1ELi2ELi3ELi4ELi5EEEELi5ELi4EEEfNS5_IJPKfEEEfS8_S8_S9_NSB_INS5_IJSE_SG_SI_SI_SI_SG_SG_SK_SK_SK_SG_SN_SN_SP_SP_SR_SG_SG_NSQ_INS5_IJiNS_17integral_constantIiLi128EEEEEELb0EEENSF_INS2A_IiLi1EEEEEEEENS5_IJSU_SV_SW_SX_SY_SZ_S10_S11_S12_S13_S14_S15_S16_S17_S18_S19_S1A_NST_IJLi23EEEES1J_NST_IJLi24EEEEEEENS5_IJS1C_S10_S11_S12_S13_S14_S1D_S1E_S1F_S1G_S1H_S17_S18_S1A_S19_S1I_S1J_NST_IJLi26EEEENST_IJLi27ELi28EEEENST_IJLi29EEEEEEENST_IJLi26ELi27ELi28ELi29EEEElEENSB_INS5_IJSR_SP_SP_SR_SG_SG_S2D_S2F_EEENS5_IJSU_SV_SW_SY_SX_SZ_S11_S10_EEENS5_IJS1P_SX_SY_S1Q_S11_S12_NST_IJLi9ELi10EEEES1D_EEENST_IJLi8ELi9ELi10ELi11EEEElEENS5_IJNSB_INS5_IJSK_SP_SP_NSQ_INS5_IJiNS2A_IiLi2EEENS2A_IiLi64EEEEEELb0EEES2Z_EEENS5_IJSU_SV_SW_SX_SY_EEENS5_IJS1P_SX_SY_NST_IJLi5ELi6ELi7EEEENST_IJLi8ELi9ELi10EEEEEEENST_IJLi5ELi6ELi7ELi8ELi9ELi10EEEElEEEEES36_NS_31BlockToCTileMap_M00_N00_M01_N01ILi128ELi128ES1Y_Lb0EEENS1_30ComputePtrOffsetOfStridedBatchILi1ELi1ELi1EvEELb1ELb0EEEvPKT0_S3E_T1_PT2_T3_T4_T5_iT6_T7_T8_T9_T10_T11_
; %bb.0:
	s_clause 0x2
	s_load_b256 s[44:51], s[0:1], 0x48
	s_load_b256 s[52:59], s[0:1], 0x28
	;; [unrolled: 1-line block ×3, first 2 shown]
	s_mov_b64 s[2:3], src_private_base
	s_clause 0x8
	s_load_b256 s[4:11], s[0:1], 0x0
	s_load_b256 s[68:75], s[0:1], 0x128
	s_load_b32 s2, s[0:1], 0x24
	s_load_b256 s[76:83], s[0:1], 0x108
	s_load_b256 s[16:23], s[0:1], 0x68
	;; [unrolled: 1-line block ×6, first 2 shown]
	s_mov_b32 s12, s15
	s_movk_i32 s32, 0x2c0
	s_waitcnt lgkmcnt(0)
	s_abs_i32 s13, s2
	v_dual_mov_b32 v1, s48 :: v_dual_mov_b32 v2, s49
	v_dual_mov_b32 v3, s50 :: v_dual_mov_b32 v4, s51
	;; [unrolled: 1-line block ×12, first 2 shown]
	s_clause 0x5
	scratch_store_b128 off, v[1:4], off offset:48
	scratch_store_b128 off, v[5:8], off offset:32
	;; [unrolled: 1-line block ×3, first 2 shown]
	scratch_store_b128 off, v[13:16], off
	scratch_store_b128 off, v[17:20], off offset:304
	scratch_store_b128 off, v[21:24], off offset:288
	v_dual_mov_b32 v1, s72 :: v_dual_mov_b32 v2, s73
	v_dual_mov_b32 v3, s74 :: v_dual_mov_b32 v4, s75
	;; [unrolled: 1-line block ×11, first 2 shown]
	s_load_b256 s[44:51], s[0:1], 0x168
	v_dual_mov_b32 v23, s86 :: v_dual_mov_b32 v24, s87
	s_clause 0x5
	scratch_store_b128 off, v[1:4], off offset:272
	scratch_store_b128 off, v[5:8], off offset:256
	;; [unrolled: 1-line block ×6, first 2 shown]
	v_cvt_f32_u32_e32 v9, s13
	v_dual_mov_b32 v1, s96 :: v_dual_mov_b32 v2, s97
	v_dual_mov_b32 v3, s98 :: v_dual_mov_b32 v4, s99
	;; [unrolled: 1-line block ×4, first 2 shown]
	v_rcp_iflag_f32_e32 v17, v9
	s_clause 0x1
	scratch_store_b128 off, v[1:4], off offset:176
	scratch_store_b128 off, v[5:8], off offset:160
	v_dual_mov_b32 v1, s40 :: v_dual_mov_b32 v2, s41
	v_dual_mov_b32 v9, s28 :: v_dual_mov_b32 v10, s29
	;; [unrolled: 1-line block ×8, first 2 shown]
	s_clause 0x1
	scratch_store_b128 off, v[1:4], off offset:144
	scratch_store_b128 off, v[5:8], off offset:128
	v_dual_mov_b32 v1, s20 :: v_dual_mov_b32 v2, s21
	s_clause 0x1
	scratch_store_b128 off, v[9:12], off offset:112
	scratch_store_b128 off, v[13:16], off offset:96
	v_dual_mov_b32 v3, s22 :: v_dual_mov_b32 v4, s23
	v_dual_mov_b32 v5, s16 :: v_dual_mov_b32 v6, s17
	s_load_b32 s14, s[0:1], 0x300
	v_dual_mov_b32 v7, s18 :: v_dual_mov_b32 v8, s19
	v_mul_f32_e32 v9, 0x4f7ffffe, v17
	s_clause 0x1
	scratch_store_b128 off, v[1:4], off offset:80
	scratch_store_b128 off, v[5:8], off offset:64
	s_waitcnt lgkmcnt(0)
	v_dual_mov_b32 v1, s44 :: v_dual_mov_b32 v4, s47
	v_mov_b32_e32 v2, s45
	v_cvt_u32_f32_e32 v17, v9
	s_load_b256 s[52:59], s[0:1], 0x188
	s_sub_i32 s16, 0, s13
	s_load_b256 s[24:31], s[0:1], 0x1a8
	v_dual_mov_b32 v5, s48 :: v_dual_mov_b32 v8, s51
	v_readfirstlane_b32 s15, v17
	v_dual_mov_b32 v3, s46 :: v_dual_mov_b32 v6, s49
	v_mov_b32_e32 v7, s50
	s_abs_i32 s34, s14
	s_delay_alu instid0(VALU_DEP_3)
	s_mul_i32 s33, s16, s15
	s_xor_b32 s2, s14, s2
	s_mul_hi_u32 s33, s15, s33
	s_load_b256 s[16:23], s[0:1], 0x208
	s_add_i32 s15, s15, s33
	s_ashr_i32 s2, s2, 31
	s_mul_hi_u32 s15, s34, s15
	s_load_b256 s[44:51], s[0:1], 0x1e8
	s_mul_i32 s14, s15, s13
	s_add_i32 s33, s15, 1
	s_sub_i32 s14, s34, s14
	s_load_b256 s[36:43], s[0:1], 0x1c8
	s_sub_i32 s34, s14, s13
	s_cmp_ge_u32 s14, s13
	s_waitcnt lgkmcnt(0)
	v_dual_mov_b32 v9, s52 :: v_dual_mov_b32 v12, s55
	s_cselect_b32 s15, s33, s15
	s_cselect_b32 s14, s34, s14
	s_add_i32 s33, s15, 1
	v_dual_mov_b32 v13, s56 :: v_dual_mov_b32 v16, s59
	s_cmp_ge_u32 s14, s13
	v_dual_mov_b32 v10, s53 :: v_dual_mov_b32 v11, s54
	v_dual_mov_b32 v14, s57 :: v_dual_mov_b32 v15, s58
	s_load_b256 s[52:59], s[0:1], 0x248
	s_cselect_b32 s13, s33, s15
	s_clause 0x1
	scratch_store_b128 off, v[1:4], off offset:320
	scratch_store_b128 off, v[5:8], off offset:336
	s_xor_b32 s13, s13, s2
	v_dual_mov_b32 v1, s24 :: v_dual_mov_b32 v4, s27
	s_sub_i32 s2, s13, s2
	v_mov_b32_e32 v2, s25
	s_abs_i32 s13, s2
	s_clause 0x1
	scratch_store_b128 off, v[9:12], off offset:352
	scratch_store_b128 off, v[13:16], off offset:368
	v_cvt_f32_u32_e32 v13, s13
	v_mov_b32_e32 v3, s26
	v_dual_mov_b32 v5, s28 :: v_dual_mov_b32 v8, s31
	v_dual_mov_b32 v9, s16 :: v_dual_mov_b32 v12, s19
	;; [unrolled: 1-line block ×4, first 2 shown]
	v_rcp_iflag_f32_e32 v21, v13
	s_clause 0x1
	scratch_store_b128 off, v[1:4], off offset:384
	scratch_store_b128 off, v[5:8], off offset:400
	v_dual_mov_b32 v1, s48 :: v_dual_mov_b32 v4, s51
	v_mov_b32_e32 v2, s49
	scratch_store_b128 off, v[9:12], off offset:480
	v_mov_b32_e32 v3, s50
	v_dual_mov_b32 v5, s44 :: v_dual_mov_b32 v8, s47
	v_dual_mov_b32 v9, s40 :: v_dual_mov_b32 v12, s43
	;; [unrolled: 1-line block ×6, first 2 shown]
	s_waitcnt lgkmcnt(0)
	v_dual_mov_b32 v17, s56 :: v_dual_mov_b32 v20, s59
	s_load_b256 s[24:31], s[0:1], 0x228
	v_dual_mov_b32 v18, s57 :: v_dual_mov_b32 v19, s58
	s_clause 0x1
	scratch_store_b128 off, v[1:4], off offset:464
	scratch_store_b128 off, v[5:8], off offset:448
	v_dual_mov_b32 v1, s52 :: v_dual_mov_b32 v2, s53
	s_clause 0x2
	scratch_store_b128 off, v[9:12], off offset:432
	scratch_store_b128 off, v[13:16], off offset:416
	;; [unrolled: 1-line block ×3, first 2 shown]
	v_dual_mul_f32 v17, 0x4f7ffffe, v21 :: v_dual_mov_b32 v4, s55
	s_load_b128 s[16:19], s[0:1], 0x2c8
	s_sub_i32 s15, 0, s13
	v_mov_b32_e32 v3, s54
	s_delay_alu instid0(VALU_DEP_2) | instskip(SKIP_3) | instid1(VALU_DEP_3)
	v_cvt_u32_f32_e32 v17, v17
	v_mov_b32_e32 v13, s20
	s_abs_i32 s33, s12
	v_dual_mov_b32 v14, s21 :: v_dual_mov_b32 v15, s22
	v_readfirstlane_b32 s14, v17
	v_mov_b32_e32 v16, s23
	s_load_b256 s[36:43], s[0:1], 0x2a8
	s_waitcnt lgkmcnt(0)
	v_dual_mov_b32 v5, s28 :: v_dual_mov_b32 v6, s29
	s_mul_i32 s15, s15, s14
	v_mov_b32_e32 v7, s30
	s_mul_hi_u32 s15, s14, s15
	v_dual_mov_b32 v8, s31 :: v_dual_mov_b32 v9, s24
	v_dual_mov_b32 v10, s25 :: v_dual_mov_b32 v11, s26
	v_mov_b32_e32 v12, s27
	s_add_i32 s14, s14, s15
	s_clause 0x3
	scratch_store_b128 off, v[1:4], off offset:544
	scratch_store_b128 off, v[5:8], off offset:528
	;; [unrolled: 1-line block ×4, first 2 shown]
	s_mul_hi_u32 s14, s33, s14
	v_dual_mov_b32 v1, s16 :: v_dual_mov_b32 v2, s17
	v_dual_mov_b32 v3, s18 :: v_dual_mov_b32 v4, s19
	s_clause 0x2
	s_load_b256 s[24:31], s[0:1], 0x268
	s_load_b256 s[44:51], s[0:1], 0x288
	;; [unrolled: 1-line block ×3, first 2 shown]
	s_mul_i32 s15, s14, s13
	s_xor_b32 s2, s12, s2
	s_sub_i32 s15, s33, s15
	s_ashr_i32 s2, s2, 31
	s_add_i32 s33, s14, 1
	s_sub_i32 s34, s15, s13
	s_cmp_ge_u32 s15, s13
	scratch_store_b128 off, v[1:4], off offset:672
	s_cselect_b32 s14, s33, s14
	s_cselect_b32 s15, s34, s15
	s_add_i32 s33, s14, 1
	s_cmp_ge_u32 s15, s13
	s_mov_b32 s15, 0
	s_cselect_b32 s13, s33, s14
	v_mov_b32_e32 v1, s40
	s_xor_b32 s13, s13, s2
	v_mov_b32_e32 v2, s41
	s_sub_i32 s2, s13, s2
	s_waitcnt lgkmcnt(0)
	v_mov_b32_e32 v9, s28
	s_ashr_i32 s13, s2, 31
	v_mov_b32_e32 v13, s24
	v_dual_mov_b32 v11, s30 :: v_dual_mov_b32 v16, s27
	v_dual_mov_b32 v14, s25 :: v_dual_mov_b32 v15, s26
	s_mul_i32 s14, s16, s13
	s_mul_hi_u32 s24, s16, s2
	s_mul_i32 s17, s17, s2
	s_add_i32 s14, s24, s14
	s_mul_i32 s24, s18, s13
	s_mul_hi_u32 s25, s18, s2
	s_add_i32 s26, s14, s17
	s_add_i32 s17, s25, s24
	s_mul_i32 s19, s19, s2
	s_mul_i32 s14, s16, s2
	s_add_i32 s24, s17, s19
	s_mul_i32 s16, s22, s13
	s_mul_i32 s13, s20, s13
	s_mul_hi_u32 s17, s20, s2
	s_mul_hi_u32 s19, s22, s2
	s_add_i32 s13, s17, s13
	s_mul_i32 s17, s21, s2
	s_add_i32 s19, s19, s16
	s_add_i32 s17, s13, s17
	s_mul_i32 s16, s20, s2
	s_mul_i32 s13, s23, s2
	s_lshl_b64 s[16:17], s[16:17], 2
	s_add_i32 s13, s19, s13
	s_add_u32 s20, s8, s16
	s_addc_u32 s21, s9, s17
	s_lshl_b32 s9, s26, 2
	s_mov_b32 s8, s15
	s_lshl_b64 s[16:17], s[14:15], 2
	s_mul_i32 s18, s18, s2
	s_or_b64 s[8:9], s[8:9], s[16:17]
	s_mov_b32 s19, s15
	s_add_u32 s14, s4, s8
	s_addc_u32 s23, s5, s9
	s_lshl_b32 s5, s24, 2
	s_mov_b32 s4, s15
	s_lshl_b64 s[8:9], s[18:19], 2
	v_dual_mov_b32 v3, s42 :: v_dual_mov_b32 v4, s43
	v_dual_mov_b32 v5, s36 :: v_dual_mov_b32 v6, s37
	;; [unrolled: 1-line block ×3, first 2 shown]
	s_or_b64 s[4:5], s[4:5], s[8:9]
	s_mul_i32 s16, s22, s2
	s_mov_b32 s17, s15
	s_add_u32 s2, s6, s4
	s_addc_u32 s18, s7, s5
	s_lshl_b32 s5, s13, 2
	s_mov_b32 s4, s15
	s_lshl_b64 s[6:7], s[16:17], 2
	s_clause 0x1
	scratch_store_b128 off, v[1:4], off offset:656
	scratch_store_b128 off, v[5:8], off offset:640
	v_mov_b32_e32 v1, s48
	v_dual_mov_b32 v5, s44 :: v_dual_mov_b32 v10, s29
	v_dual_mov_b32 v2, s49 :: v_dual_mov_b32 v3, s50
	v_mov_b32_e32 v8, s47
	v_dual_mov_b32 v4, s51 :: v_dual_mov_b32 v7, s46
	v_mov_b32_e32 v12, s31
	s_or_b64 s[4:5], s[4:5], s[6:7]
	v_mov_b32_e32 v6, s45
	s_add_u32 s4, s10, s4
	s_addc_u32 s5, s11, s5
	s_clause 0x1
	scratch_store_b128 off, v[1:4], off offset:624
	scratch_store_b128 off, v[5:8], off offset:608
	v_dual_mov_b32 v31, v0 :: v_dual_mov_b32 v4, s20
	v_dual_mov_b32 v0, s14 :: v_dual_mov_b32 v1, s23
	v_mov_b32_e32 v6, s4
	v_mov_b32_e32 v2, s2
	s_clause 0x1
	scratch_store_b128 off, v[9:12], off offset:592
	scratch_store_b128 off, v[13:16], off offset:576
	v_dual_mov_b32 v3, s18 :: v_dual_mov_b32 v8, 0
	v_dual_mov_b32 v5, s21 :: v_dual_mov_b32 v10, 0x140
	;; [unrolled: 1-line block ×5, first 2 shown]
	v_mov_b32_e32 v13, s3
	v_mov_b32_e32 v15, s3
	;; [unrolled: 1-line block ×3, first 2 shown]
	s_add_u32 s8, s0, 0x300
	s_addc_u32 s9, s1, 0
	s_getpc_b64 s[0:1]
	s_add_u32 s0, s0, _ZN2ck32GridwiseGemmDlMultipleD_km_kn_mnILi256EffNS_5TupleIJfEEEfNS_16tensor_operation12element_wise11PassThroughES5_NS4_7AddReluELNS_25InMemoryDataOperationEnumE0ENS_16TensorDescriptorINS1_IJNS_5EmbedINS1_IJiiiiiEEESA_Lb0EEENS_11PassThroughIiEENS_3PadIiiiLb0EEESF_SF_SD_SD_NS9_INS1_IJiiEEESG_Lb0EEESH_SH_SD_NS_23Merge_v2_magic_divisionINS1_IJiiiiEEEEESK_NS_8RightPadIiiLb0EEESM_NS_7UnMergeISG_Lb0EEESD_EEENS1_IJNS_8SequenceIJLi0EEEENSQ_IJLi1EEEENSQ_IJLi2EEEENSQ_IJLi3EEEENSQ_IJLi4EEEENSQ_IJLi5EEEENSQ_IJLi6EEEENSQ_IJLi7EEEENSQ_IJLi8EEEENSQ_IJLi9EEEENSQ_IJLi10EEEENSQ_IJLi11ELi13ELi15ELi17EEEENSQ_IJLi12ELi14ELi16ELi18EEEENSQ_IJLi19EEEENSQ_IJLi20EEEENSQ_IJLi22EEEENSQ_IJLi21EEEEEEENS1_IJNSQ_IJLi1ELi2ELi3ELi4ELi5EEEESX_SY_SZ_S10_S11_NSQ_IJLi11EEEENSQ_IJLi12ELi13EEEENSQ_IJLi14ELi15EEEENSQ_IJLi16ELi17EEEENSQ_IJLi18EEEES14_S15_S17_S16_NSQ_IJLi23ELi24EEEENSQ_IJLi25EEEEEEENSQ_IJLi23ELi25ELi24EEEElEENS8_INS1_IJSO_SM_SM_SO_SD_EEENS1_IJSR_SS_ST_SV_SU_EEENS1_IJNSQ_IJLi1ELi2EEEESU_SV_NSQ_IJLi5ELi6EEEESY_EEENSQ_IJLi5ELi7ELi6EEEElEENS8_INS1_IJSH_SM_SM_EEENS1_IJSR_SS_ST_EEENS1_IJS1M_SU_SV_EEENSQ_IJLi3ELi4EEEElEELi128ELi128ELi16ELi1ELi4ELi4ELi1ENSQ_IJLi8ELi2EEEES1W_NSQ_IJLi8ELi1ELi1ELi1EEEENSQ_IJLi2ELi1ELi128ELi1EEEENSQ_IJLi1ELi2ELi0ELi3EEEES1Z_NSQ_IJLi4ELi1ELi1ELi1EEEES1Z_NSQ_IJLi1ELi1ELi1ELi1EEEES1X_S1Y_S1Z_S1Z_S20_S1Z_S21_NSQ_IJLi0ELi1ELi2ELi3ELi4ELi5EEEELi5ELi4EE3RunINS1_IJNS8_INS1_IJSH_SM_SM_NSN_INS1_IJiNS_17integral_constantIiLi2EEENS25_IiLi64EEEEEELb0EEES29_EEENS1_IJSR_SS_ST_SU_SV_EEENS1_IJS1M_SU_SV_NSQ_IJLi5ELi6ELi7EEEENSQ_IJLi8ELi9ELi10EEEEEEENSQ_IJLi5ELi6ELi7ELi8ELi9ELi10EEEElEEEEELb1ELb0ENS_31BlockToCTileMap_M00_N00_M01_N01ILi128ELi128ES1V_Lb0EEEEEvPKfS2L_NS1_IJS2L_EEEPfPvRKS5_S2Q_RKS6_RKNS8_INS1_IJSB_SD_SF_SF_SF_SD_SD_SH_SH_SH_SD_SK_SK_SM_SM_SO_SD_SD_NSN_INS1_IJiNS25_IiLi128EEEEEELb0EEENSC_INS25_IiLi1EEEEEEEENS1_IJSR_SS_ST_SU_SV_SW_SX_SY_SZ_S10_S11_S12_S13_S14_S15_S16_S17_NSQ_IJLi23EEEES1G_NSQ_IJLi24EEEEEEENS1_IJS19_SX_SY_SZ_S10_S11_S1A_S1B_S1C_S1D_S1E_S14_S15_S17_S16_S1F_S1G_NSQ_IJLi26EEEENSQ_IJLi27ELi28EEEENSQ_IJLi29EEEEEEENSQ_IJLi26ELi27ELi28ELi29EEEElEERKNS8_INS1_IJSO_SM_SM_SO_SD_SD_S2V_S2X_EEENS1_IJSR_SS_ST_SV_SU_SW_SY_SX_EEENS1_IJS1M_SU_SV_S1N_SY_SZ_NSQ_IJLi9ELi10EEEES1A_EEENSQ_IJLi8ELi9ELi10ELi11EEEElEERKT_RKS2G_RKT2_NS25_IbXT0_EEENS25_IbXT1_EEE@rel32@lo+4
	s_addc_u32 s1, s1, _ZN2ck32GridwiseGemmDlMultipleD_km_kn_mnILi256EffNS_5TupleIJfEEEfNS_16tensor_operation12element_wise11PassThroughES5_NS4_7AddReluELNS_25InMemoryDataOperationEnumE0ENS_16TensorDescriptorINS1_IJNS_5EmbedINS1_IJiiiiiEEESA_Lb0EEENS_11PassThroughIiEENS_3PadIiiiLb0EEESF_SF_SD_SD_NS9_INS1_IJiiEEESG_Lb0EEESH_SH_SD_NS_23Merge_v2_magic_divisionINS1_IJiiiiEEEEESK_NS_8RightPadIiiLb0EEESM_NS_7UnMergeISG_Lb0EEESD_EEENS1_IJNS_8SequenceIJLi0EEEENSQ_IJLi1EEEENSQ_IJLi2EEEENSQ_IJLi3EEEENSQ_IJLi4EEEENSQ_IJLi5EEEENSQ_IJLi6EEEENSQ_IJLi7EEEENSQ_IJLi8EEEENSQ_IJLi9EEEENSQ_IJLi10EEEENSQ_IJLi11ELi13ELi15ELi17EEEENSQ_IJLi12ELi14ELi16ELi18EEEENSQ_IJLi19EEEENSQ_IJLi20EEEENSQ_IJLi22EEEENSQ_IJLi21EEEEEEENS1_IJNSQ_IJLi1ELi2ELi3ELi4ELi5EEEESX_SY_SZ_S10_S11_NSQ_IJLi11EEEENSQ_IJLi12ELi13EEEENSQ_IJLi14ELi15EEEENSQ_IJLi16ELi17EEEENSQ_IJLi18EEEES14_S15_S17_S16_NSQ_IJLi23ELi24EEEENSQ_IJLi25EEEEEEENSQ_IJLi23ELi25ELi24EEEElEENS8_INS1_IJSO_SM_SM_SO_SD_EEENS1_IJSR_SS_ST_SV_SU_EEENS1_IJNSQ_IJLi1ELi2EEEESU_SV_NSQ_IJLi5ELi6EEEESY_EEENSQ_IJLi5ELi7ELi6EEEElEENS8_INS1_IJSH_SM_SM_EEENS1_IJSR_SS_ST_EEENS1_IJS1M_SU_SV_EEENSQ_IJLi3ELi4EEEElEELi128ELi128ELi16ELi1ELi4ELi4ELi1ENSQ_IJLi8ELi2EEEES1W_NSQ_IJLi8ELi1ELi1ELi1EEEENSQ_IJLi2ELi1ELi128ELi1EEEENSQ_IJLi1ELi2ELi0ELi3EEEES1Z_NSQ_IJLi4ELi1ELi1ELi1EEEES1Z_NSQ_IJLi1ELi1ELi1ELi1EEEES1X_S1Y_S1Z_S1Z_S20_S1Z_S21_NSQ_IJLi0ELi1ELi2ELi3ELi4ELi5EEEELi5ELi4EE3RunINS1_IJNS8_INS1_IJSH_SM_SM_NSN_INS1_IJiNS_17integral_constantIiLi2EEENS25_IiLi64EEEEEELb0EEES29_EEENS1_IJSR_SS_ST_SU_SV_EEENS1_IJS1M_SU_SV_NSQ_IJLi5ELi6ELi7EEEENSQ_IJLi8ELi9ELi10EEEEEEENSQ_IJLi5ELi6ELi7ELi8ELi9ELi10EEEElEEEEELb1ELb0ENS_31BlockToCTileMap_M00_N00_M01_N01ILi128ELi128ES1V_Lb0EEEEEvPKfS2L_NS1_IJS2L_EEEPfPvRKS5_S2Q_RKS6_RKNS8_INS1_IJSB_SD_SF_SF_SF_SD_SD_SH_SH_SH_SD_SK_SK_SM_SM_SO_SD_SD_NSN_INS1_IJiNS25_IiLi128EEEEEELb0EEENSC_INS25_IiLi1EEEEEEEENS1_IJSR_SS_ST_SU_SV_SW_SX_SY_SZ_S10_S11_S12_S13_S14_S15_S16_S17_NSQ_IJLi23EEEES1G_NSQ_IJLi24EEEEEEENS1_IJS19_SX_SY_SZ_S10_S11_S1A_S1B_S1C_S1D_S1E_S14_S15_S17_S16_S1F_S1G_NSQ_IJLi26EEEENSQ_IJLi27ELi28EEEENSQ_IJLi29EEEEEEENSQ_IJLi26ELi27ELi28ELi29EEEElEERKNS8_INS1_IJSO_SM_SM_SO_SD_SD_S2V_S2X_EEENS1_IJSR_SS_ST_SV_SU_SW_SY_SX_EEENS1_IJS1M_SU_SV_S1N_SY_SZ_NSQ_IJLi9ELi10EEEES1A_EEENSQ_IJLi8ELi9ELi10ELi11EEEElEERKT_RKS2G_RKT2_NS25_IbXT0_EEENS25_IbXT1_EEE@rel32@hi+12
	s_delay_alu instid0(SALU_CYCLE_1)
	s_swappc_b64 s[30:31], s[0:1]
	s_endpgm
	.section	.rodata,"a",@progbits
	.p2align	6, 0x0
	.amdhsa_kernel _ZN2ck16tensor_operation6device12_GLOBAL__N_137kernel_grouped_conv_fwd_dl_multiple_dINS_32GridwiseGemmDlMultipleD_km_kn_mnILi256EffNS_5TupleIJfEEEfNS0_12element_wise11PassThroughES8_NS7_7AddReluELNS_25InMemoryDataOperationEnumE0ENS_16TensorDescriptorINS5_IJNS_5EmbedINS5_IJiiiiiEEESD_Lb0EEENS_11PassThroughIiEENS_3PadIiiiLb0EEESI_SI_SG_SG_NSC_INS5_IJiiEEESJ_Lb0EEESK_SK_SG_NS_23Merge_v2_magic_divisionINS5_IJiiiiEEEEESN_NS_8RightPadIiiLb0EEESP_NS_7UnMergeISJ_Lb0EEESG_EEENS5_IJNS_8SequenceIJLi0EEEENST_IJLi1EEEENST_IJLi2EEEENST_IJLi3EEEENST_IJLi4EEEENST_IJLi5EEEENST_IJLi6EEEENST_IJLi7EEEENST_IJLi8EEEENST_IJLi9EEEENST_IJLi10EEEENST_IJLi11ELi13ELi15ELi17EEEENST_IJLi12ELi14ELi16ELi18EEEENST_IJLi19EEEENST_IJLi20EEEENST_IJLi22EEEENST_IJLi21EEEEEEENS5_IJNST_IJLi1ELi2ELi3ELi4ELi5EEEES10_S11_S12_S13_S14_NST_IJLi11EEEENST_IJLi12ELi13EEEENST_IJLi14ELi15EEEENST_IJLi16ELi17EEEENST_IJLi18EEEES17_S18_S1A_S19_NST_IJLi23ELi24EEEENST_IJLi25EEEEEEENST_IJLi23ELi25ELi24EEEElEENSB_INS5_IJSR_SP_SP_SR_SG_EEENS5_IJSU_SV_SW_SY_SX_EEENS5_IJNST_IJLi1ELi2EEEESX_SY_NST_IJLi5ELi6EEEES11_EEENST_IJLi5ELi7ELi6EEEElEENSB_INS5_IJSK_SP_SP_EEENS5_IJSU_SV_SW_EEENS5_IJS1P_SX_SY_EEENST_IJLi3ELi4EEEElEELi128ELi128ELi16ELi1ELi4ELi4ELi1ENST_IJLi8ELi2EEEES1Z_NST_IJLi8ELi1ELi1ELi1EEEENST_IJLi2ELi1ELi128ELi1EEEENST_IJLi1ELi2ELi0ELi3EEEES22_NST_IJLi4ELi1ELi1ELi1EEEES22_NST_IJLi1ELi1ELi1ELi1EEEES20_S21_S22_S22_S23_S22_S24_NST_IJLi0ELi1ELi2ELi3ELi4ELi5EEEELi5ELi4EEEfNS5_IJPKfEEEfS8_S8_S9_NSB_INS5_IJSE_SG_SI_SI_SI_SG_SG_SK_SK_SK_SG_SN_SN_SP_SP_SR_SG_SG_NSQ_INS5_IJiNS_17integral_constantIiLi128EEEEEELb0EEENSF_INS2A_IiLi1EEEEEEEENS5_IJSU_SV_SW_SX_SY_SZ_S10_S11_S12_S13_S14_S15_S16_S17_S18_S19_S1A_NST_IJLi23EEEES1J_NST_IJLi24EEEEEEENS5_IJS1C_S10_S11_S12_S13_S14_S1D_S1E_S1F_S1G_S1H_S17_S18_S1A_S19_S1I_S1J_NST_IJLi26EEEENST_IJLi27ELi28EEEENST_IJLi29EEEEEEENST_IJLi26ELi27ELi28ELi29EEEElEENSB_INS5_IJSR_SP_SP_SR_SG_SG_S2D_S2F_EEENS5_IJSU_SV_SW_SY_SX_SZ_S11_S10_EEENS5_IJS1P_SX_SY_S1Q_S11_S12_NST_IJLi9ELi10EEEES1D_EEENST_IJLi8ELi9ELi10ELi11EEEElEENS5_IJNSB_INS5_IJSK_SP_SP_NSQ_INS5_IJiNS2A_IiLi2EEENS2A_IiLi64EEEEEELb0EEES2Z_EEENS5_IJSU_SV_SW_SX_SY_EEENS5_IJS1P_SX_SY_NST_IJLi5ELi6ELi7EEEENST_IJLi8ELi9ELi10EEEEEEENST_IJLi5ELi6ELi7ELi8ELi9ELi10EEEElEEEEES36_NS_31BlockToCTileMap_M00_N00_M01_N01ILi128ELi128ES1Y_Lb0EEENS1_30ComputePtrOffsetOfStridedBatchILi1ELi1ELi1EvEELb1ELb0EEEvPKT0_S3E_T1_PT2_T3_T4_T5_iT6_T7_T8_T9_T10_T11_
		.amdhsa_group_segment_fixed_size 32768
		.amdhsa_private_segment_fixed_size 704
		.amdhsa_kernarg_size 1024
		.amdhsa_user_sgpr_count 15
		.amdhsa_user_sgpr_dispatch_ptr 0
		.amdhsa_user_sgpr_queue_ptr 0
		.amdhsa_user_sgpr_kernarg_segment_ptr 1
		.amdhsa_user_sgpr_dispatch_id 0
		.amdhsa_user_sgpr_private_segment_size 0
		.amdhsa_wavefront_size32 1
		.amdhsa_uses_dynamic_stack 0
		.amdhsa_enable_private_segment 1
		.amdhsa_system_sgpr_workgroup_id_x 1
		.amdhsa_system_sgpr_workgroup_id_y 0
		.amdhsa_system_sgpr_workgroup_id_z 0
		.amdhsa_system_sgpr_workgroup_info 0
		.amdhsa_system_vgpr_workitem_id 0
		.amdhsa_next_free_vgpr 246
		.amdhsa_next_free_sgpr 100
		.amdhsa_reserve_vcc 1
		.amdhsa_float_round_mode_32 0
		.amdhsa_float_round_mode_16_64 0
		.amdhsa_float_denorm_mode_32 3
		.amdhsa_float_denorm_mode_16_64 3
		.amdhsa_dx10_clamp 1
		.amdhsa_ieee_mode 1
		.amdhsa_fp16_overflow 0
		.amdhsa_workgroup_processor_mode 1
		.amdhsa_memory_ordered 1
		.amdhsa_forward_progress 0
		.amdhsa_shared_vgpr_count 0
		.amdhsa_exception_fp_ieee_invalid_op 0
		.amdhsa_exception_fp_denorm_src 0
		.amdhsa_exception_fp_ieee_div_zero 0
		.amdhsa_exception_fp_ieee_overflow 0
		.amdhsa_exception_fp_ieee_underflow 0
		.amdhsa_exception_fp_ieee_inexact 0
		.amdhsa_exception_int_div_zero 0
	.end_amdhsa_kernel
	.section	.text._ZN2ck16tensor_operation6device12_GLOBAL__N_137kernel_grouped_conv_fwd_dl_multiple_dINS_32GridwiseGemmDlMultipleD_km_kn_mnILi256EffNS_5TupleIJfEEEfNS0_12element_wise11PassThroughES8_NS7_7AddReluELNS_25InMemoryDataOperationEnumE0ENS_16TensorDescriptorINS5_IJNS_5EmbedINS5_IJiiiiiEEESD_Lb0EEENS_11PassThroughIiEENS_3PadIiiiLb0EEESI_SI_SG_SG_NSC_INS5_IJiiEEESJ_Lb0EEESK_SK_SG_NS_23Merge_v2_magic_divisionINS5_IJiiiiEEEEESN_NS_8RightPadIiiLb0EEESP_NS_7UnMergeISJ_Lb0EEESG_EEENS5_IJNS_8SequenceIJLi0EEEENST_IJLi1EEEENST_IJLi2EEEENST_IJLi3EEEENST_IJLi4EEEENST_IJLi5EEEENST_IJLi6EEEENST_IJLi7EEEENST_IJLi8EEEENST_IJLi9EEEENST_IJLi10EEEENST_IJLi11ELi13ELi15ELi17EEEENST_IJLi12ELi14ELi16ELi18EEEENST_IJLi19EEEENST_IJLi20EEEENST_IJLi22EEEENST_IJLi21EEEEEEENS5_IJNST_IJLi1ELi2ELi3ELi4ELi5EEEES10_S11_S12_S13_S14_NST_IJLi11EEEENST_IJLi12ELi13EEEENST_IJLi14ELi15EEEENST_IJLi16ELi17EEEENST_IJLi18EEEES17_S18_S1A_S19_NST_IJLi23ELi24EEEENST_IJLi25EEEEEEENST_IJLi23ELi25ELi24EEEElEENSB_INS5_IJSR_SP_SP_SR_SG_EEENS5_IJSU_SV_SW_SY_SX_EEENS5_IJNST_IJLi1ELi2EEEESX_SY_NST_IJLi5ELi6EEEES11_EEENST_IJLi5ELi7ELi6EEEElEENSB_INS5_IJSK_SP_SP_EEENS5_IJSU_SV_SW_EEENS5_IJS1P_SX_SY_EEENST_IJLi3ELi4EEEElEELi128ELi128ELi16ELi1ELi4ELi4ELi1ENST_IJLi8ELi2EEEES1Z_NST_IJLi8ELi1ELi1ELi1EEEENST_IJLi2ELi1ELi128ELi1EEEENST_IJLi1ELi2ELi0ELi3EEEES22_NST_IJLi4ELi1ELi1ELi1EEEES22_NST_IJLi1ELi1ELi1ELi1EEEES20_S21_S22_S22_S23_S22_S24_NST_IJLi0ELi1ELi2ELi3ELi4ELi5EEEELi5ELi4EEEfNS5_IJPKfEEEfS8_S8_S9_NSB_INS5_IJSE_SG_SI_SI_SI_SG_SG_SK_SK_SK_SG_SN_SN_SP_SP_SR_SG_SG_NSQ_INS5_IJiNS_17integral_constantIiLi128EEEEEELb0EEENSF_INS2A_IiLi1EEEEEEEENS5_IJSU_SV_SW_SX_SY_SZ_S10_S11_S12_S13_S14_S15_S16_S17_S18_S19_S1A_NST_IJLi23EEEES1J_NST_IJLi24EEEEEEENS5_IJS1C_S10_S11_S12_S13_S14_S1D_S1E_S1F_S1G_S1H_S17_S18_S1A_S19_S1I_S1J_NST_IJLi26EEEENST_IJLi27ELi28EEEENST_IJLi29EEEEEEENST_IJLi26ELi27ELi28ELi29EEEElEENSB_INS5_IJSR_SP_SP_SR_SG_SG_S2D_S2F_EEENS5_IJSU_SV_SW_SY_SX_SZ_S11_S10_EEENS5_IJS1P_SX_SY_S1Q_S11_S12_NST_IJLi9ELi10EEEES1D_EEENST_IJLi8ELi9ELi10ELi11EEEElEENS5_IJNSB_INS5_IJSK_SP_SP_NSQ_INS5_IJiNS2A_IiLi2EEENS2A_IiLi64EEEEEELb0EEES2Z_EEENS5_IJSU_SV_SW_SX_SY_EEENS5_IJS1P_SX_SY_NST_IJLi5ELi6ELi7EEEENST_IJLi8ELi9ELi10EEEEEEENST_IJLi5ELi6ELi7ELi8ELi9ELi10EEEElEEEEES36_NS_31BlockToCTileMap_M00_N00_M01_N01ILi128ELi128ES1Y_Lb0EEENS1_30ComputePtrOffsetOfStridedBatchILi1ELi1ELi1EvEELb1ELb0EEEvPKT0_S3E_T1_PT2_T3_T4_T5_iT6_T7_T8_T9_T10_T11_,"axG",@progbits,_ZN2ck16tensor_operation6device12_GLOBAL__N_137kernel_grouped_conv_fwd_dl_multiple_dINS_32GridwiseGemmDlMultipleD_km_kn_mnILi256EffNS_5TupleIJfEEEfNS0_12element_wise11PassThroughES8_NS7_7AddReluELNS_25InMemoryDataOperationEnumE0ENS_16TensorDescriptorINS5_IJNS_5EmbedINS5_IJiiiiiEEESD_Lb0EEENS_11PassThroughIiEENS_3PadIiiiLb0EEESI_SI_SG_SG_NSC_INS5_IJiiEEESJ_Lb0EEESK_SK_SG_NS_23Merge_v2_magic_divisionINS5_IJiiiiEEEEESN_NS_8RightPadIiiLb0EEESP_NS_7UnMergeISJ_Lb0EEESG_EEENS5_IJNS_8SequenceIJLi0EEEENST_IJLi1EEEENST_IJLi2EEEENST_IJLi3EEEENST_IJLi4EEEENST_IJLi5EEEENST_IJLi6EEEENST_IJLi7EEEENST_IJLi8EEEENST_IJLi9EEEENST_IJLi10EEEENST_IJLi11ELi13ELi15ELi17EEEENST_IJLi12ELi14ELi16ELi18EEEENST_IJLi19EEEENST_IJLi20EEEENST_IJLi22EEEENST_IJLi21EEEEEEENS5_IJNST_IJLi1ELi2ELi3ELi4ELi5EEEES10_S11_S12_S13_S14_NST_IJLi11EEEENST_IJLi12ELi13EEEENST_IJLi14ELi15EEEENST_IJLi16ELi17EEEENST_IJLi18EEEES17_S18_S1A_S19_NST_IJLi23ELi24EEEENST_IJLi25EEEEEEENST_IJLi23ELi25ELi24EEEElEENSB_INS5_IJSR_SP_SP_SR_SG_EEENS5_IJSU_SV_SW_SY_SX_EEENS5_IJNST_IJLi1ELi2EEEESX_SY_NST_IJLi5ELi6EEEES11_EEENST_IJLi5ELi7ELi6EEEElEENSB_INS5_IJSK_SP_SP_EEENS5_IJSU_SV_SW_EEENS5_IJS1P_SX_SY_EEENST_IJLi3ELi4EEEElEELi128ELi128ELi16ELi1ELi4ELi4ELi1ENST_IJLi8ELi2EEEES1Z_NST_IJLi8ELi1ELi1ELi1EEEENST_IJLi2ELi1ELi128ELi1EEEENST_IJLi1ELi2ELi0ELi3EEEES22_NST_IJLi4ELi1ELi1ELi1EEEES22_NST_IJLi1ELi1ELi1ELi1EEEES20_S21_S22_S22_S23_S22_S24_NST_IJLi0ELi1ELi2ELi3ELi4ELi5EEEELi5ELi4EEEfNS5_IJPKfEEEfS8_S8_S9_NSB_INS5_IJSE_SG_SI_SI_SI_SG_SG_SK_SK_SK_SG_SN_SN_SP_SP_SR_SG_SG_NSQ_INS5_IJiNS_17integral_constantIiLi128EEEEEELb0EEENSF_INS2A_IiLi1EEEEEEEENS5_IJSU_SV_SW_SX_SY_SZ_S10_S11_S12_S13_S14_S15_S16_S17_S18_S19_S1A_NST_IJLi23EEEES1J_NST_IJLi24EEEEEEENS5_IJS1C_S10_S11_S12_S13_S14_S1D_S1E_S1F_S1G_S1H_S17_S18_S1A_S19_S1I_S1J_NST_IJLi26EEEENST_IJLi27ELi28EEEENST_IJLi29EEEEEEENST_IJLi26ELi27ELi28ELi29EEEElEENSB_INS5_IJSR_SP_SP_SR_SG_SG_S2D_S2F_EEENS5_IJSU_SV_SW_SY_SX_SZ_S11_S10_EEENS5_IJS1P_SX_SY_S1Q_S11_S12_NST_IJLi9ELi10EEEES1D_EEENST_IJLi8ELi9ELi10ELi11EEEElEENS5_IJNSB_INS5_IJSK_SP_SP_NSQ_INS5_IJiNS2A_IiLi2EEENS2A_IiLi64EEEEEELb0EEES2Z_EEENS5_IJSU_SV_SW_SX_SY_EEENS5_IJS1P_SX_SY_NST_IJLi5ELi6ELi7EEEENST_IJLi8ELi9ELi10EEEEEEENST_IJLi5ELi6ELi7ELi8ELi9ELi10EEEElEEEEES36_NS_31BlockToCTileMap_M00_N00_M01_N01ILi128ELi128ES1Y_Lb0EEENS1_30ComputePtrOffsetOfStridedBatchILi1ELi1ELi1EvEELb1ELb0EEEvPKT0_S3E_T1_PT2_T3_T4_T5_iT6_T7_T8_T9_T10_T11_,comdat
.Lfunc_end16:
	.size	_ZN2ck16tensor_operation6device12_GLOBAL__N_137kernel_grouped_conv_fwd_dl_multiple_dINS_32GridwiseGemmDlMultipleD_km_kn_mnILi256EffNS_5TupleIJfEEEfNS0_12element_wise11PassThroughES8_NS7_7AddReluELNS_25InMemoryDataOperationEnumE0ENS_16TensorDescriptorINS5_IJNS_5EmbedINS5_IJiiiiiEEESD_Lb0EEENS_11PassThroughIiEENS_3PadIiiiLb0EEESI_SI_SG_SG_NSC_INS5_IJiiEEESJ_Lb0EEESK_SK_SG_NS_23Merge_v2_magic_divisionINS5_IJiiiiEEEEESN_NS_8RightPadIiiLb0EEESP_NS_7UnMergeISJ_Lb0EEESG_EEENS5_IJNS_8SequenceIJLi0EEEENST_IJLi1EEEENST_IJLi2EEEENST_IJLi3EEEENST_IJLi4EEEENST_IJLi5EEEENST_IJLi6EEEENST_IJLi7EEEENST_IJLi8EEEENST_IJLi9EEEENST_IJLi10EEEENST_IJLi11ELi13ELi15ELi17EEEENST_IJLi12ELi14ELi16ELi18EEEENST_IJLi19EEEENST_IJLi20EEEENST_IJLi22EEEENST_IJLi21EEEEEEENS5_IJNST_IJLi1ELi2ELi3ELi4ELi5EEEES10_S11_S12_S13_S14_NST_IJLi11EEEENST_IJLi12ELi13EEEENST_IJLi14ELi15EEEENST_IJLi16ELi17EEEENST_IJLi18EEEES17_S18_S1A_S19_NST_IJLi23ELi24EEEENST_IJLi25EEEEEEENST_IJLi23ELi25ELi24EEEElEENSB_INS5_IJSR_SP_SP_SR_SG_EEENS5_IJSU_SV_SW_SY_SX_EEENS5_IJNST_IJLi1ELi2EEEESX_SY_NST_IJLi5ELi6EEEES11_EEENST_IJLi5ELi7ELi6EEEElEENSB_INS5_IJSK_SP_SP_EEENS5_IJSU_SV_SW_EEENS5_IJS1P_SX_SY_EEENST_IJLi3ELi4EEEElEELi128ELi128ELi16ELi1ELi4ELi4ELi1ENST_IJLi8ELi2EEEES1Z_NST_IJLi8ELi1ELi1ELi1EEEENST_IJLi2ELi1ELi128ELi1EEEENST_IJLi1ELi2ELi0ELi3EEEES22_NST_IJLi4ELi1ELi1ELi1EEEES22_NST_IJLi1ELi1ELi1ELi1EEEES20_S21_S22_S22_S23_S22_S24_NST_IJLi0ELi1ELi2ELi3ELi4ELi5EEEELi5ELi4EEEfNS5_IJPKfEEEfS8_S8_S9_NSB_INS5_IJSE_SG_SI_SI_SI_SG_SG_SK_SK_SK_SG_SN_SN_SP_SP_SR_SG_SG_NSQ_INS5_IJiNS_17integral_constantIiLi128EEEEEELb0EEENSF_INS2A_IiLi1EEEEEEEENS5_IJSU_SV_SW_SX_SY_SZ_S10_S11_S12_S13_S14_S15_S16_S17_S18_S19_S1A_NST_IJLi23EEEES1J_NST_IJLi24EEEEEEENS5_IJS1C_S10_S11_S12_S13_S14_S1D_S1E_S1F_S1G_S1H_S17_S18_S1A_S19_S1I_S1J_NST_IJLi26EEEENST_IJLi27ELi28EEEENST_IJLi29EEEEEEENST_IJLi26ELi27ELi28ELi29EEEElEENSB_INS5_IJSR_SP_SP_SR_SG_SG_S2D_S2F_EEENS5_IJSU_SV_SW_SY_SX_SZ_S11_S10_EEENS5_IJS1P_SX_SY_S1Q_S11_S12_NST_IJLi9ELi10EEEES1D_EEENST_IJLi8ELi9ELi10ELi11EEEElEENS5_IJNSB_INS5_IJSK_SP_SP_NSQ_INS5_IJiNS2A_IiLi2EEENS2A_IiLi64EEEEEELb0EEES2Z_EEENS5_IJSU_SV_SW_SX_SY_EEENS5_IJS1P_SX_SY_NST_IJLi5ELi6ELi7EEEENST_IJLi8ELi9ELi10EEEEEEENST_IJLi5ELi6ELi7ELi8ELi9ELi10EEEElEEEEES36_NS_31BlockToCTileMap_M00_N00_M01_N01ILi128ELi128ES1Y_Lb0EEENS1_30ComputePtrOffsetOfStridedBatchILi1ELi1ELi1EvEELb1ELb0EEEvPKT0_S3E_T1_PT2_T3_T4_T5_iT6_T7_T8_T9_T10_T11_, .Lfunc_end16-_ZN2ck16tensor_operation6device12_GLOBAL__N_137kernel_grouped_conv_fwd_dl_multiple_dINS_32GridwiseGemmDlMultipleD_km_kn_mnILi256EffNS_5TupleIJfEEEfNS0_12element_wise11PassThroughES8_NS7_7AddReluELNS_25InMemoryDataOperationEnumE0ENS_16TensorDescriptorINS5_IJNS_5EmbedINS5_IJiiiiiEEESD_Lb0EEENS_11PassThroughIiEENS_3PadIiiiLb0EEESI_SI_SG_SG_NSC_INS5_IJiiEEESJ_Lb0EEESK_SK_SG_NS_23Merge_v2_magic_divisionINS5_IJiiiiEEEEESN_NS_8RightPadIiiLb0EEESP_NS_7UnMergeISJ_Lb0EEESG_EEENS5_IJNS_8SequenceIJLi0EEEENST_IJLi1EEEENST_IJLi2EEEENST_IJLi3EEEENST_IJLi4EEEENST_IJLi5EEEENST_IJLi6EEEENST_IJLi7EEEENST_IJLi8EEEENST_IJLi9EEEENST_IJLi10EEEENST_IJLi11ELi13ELi15ELi17EEEENST_IJLi12ELi14ELi16ELi18EEEENST_IJLi19EEEENST_IJLi20EEEENST_IJLi22EEEENST_IJLi21EEEEEEENS5_IJNST_IJLi1ELi2ELi3ELi4ELi5EEEES10_S11_S12_S13_S14_NST_IJLi11EEEENST_IJLi12ELi13EEEENST_IJLi14ELi15EEEENST_IJLi16ELi17EEEENST_IJLi18EEEES17_S18_S1A_S19_NST_IJLi23ELi24EEEENST_IJLi25EEEEEEENST_IJLi23ELi25ELi24EEEElEENSB_INS5_IJSR_SP_SP_SR_SG_EEENS5_IJSU_SV_SW_SY_SX_EEENS5_IJNST_IJLi1ELi2EEEESX_SY_NST_IJLi5ELi6EEEES11_EEENST_IJLi5ELi7ELi6EEEElEENSB_INS5_IJSK_SP_SP_EEENS5_IJSU_SV_SW_EEENS5_IJS1P_SX_SY_EEENST_IJLi3ELi4EEEElEELi128ELi128ELi16ELi1ELi4ELi4ELi1ENST_IJLi8ELi2EEEES1Z_NST_IJLi8ELi1ELi1ELi1EEEENST_IJLi2ELi1ELi128ELi1EEEENST_IJLi1ELi2ELi0ELi3EEEES22_NST_IJLi4ELi1ELi1ELi1EEEES22_NST_IJLi1ELi1ELi1ELi1EEEES20_S21_S22_S22_S23_S22_S24_NST_IJLi0ELi1ELi2ELi3ELi4ELi5EEEELi5ELi4EEEfNS5_IJPKfEEEfS8_S8_S9_NSB_INS5_IJSE_SG_SI_SI_SI_SG_SG_SK_SK_SK_SG_SN_SN_SP_SP_SR_SG_SG_NSQ_INS5_IJiNS_17integral_constantIiLi128EEEEEELb0EEENSF_INS2A_IiLi1EEEEEEEENS5_IJSU_SV_SW_SX_SY_SZ_S10_S11_S12_S13_S14_S15_S16_S17_S18_S19_S1A_NST_IJLi23EEEES1J_NST_IJLi24EEEEEEENS5_IJS1C_S10_S11_S12_S13_S14_S1D_S1E_S1F_S1G_S1H_S17_S18_S1A_S19_S1I_S1J_NST_IJLi26EEEENST_IJLi27ELi28EEEENST_IJLi29EEEEEEENST_IJLi26ELi27ELi28ELi29EEEElEENSB_INS5_IJSR_SP_SP_SR_SG_SG_S2D_S2F_EEENS5_IJSU_SV_SW_SY_SX_SZ_S11_S10_EEENS5_IJS1P_SX_SY_S1Q_S11_S12_NST_IJLi9ELi10EEEES1D_EEENST_IJLi8ELi9ELi10ELi11EEEElEENS5_IJNSB_INS5_IJSK_SP_SP_NSQ_INS5_IJiNS2A_IiLi2EEENS2A_IiLi64EEEEEELb0EEES2Z_EEENS5_IJSU_SV_SW_SX_SY_EEENS5_IJS1P_SX_SY_NST_IJLi5ELi6ELi7EEEENST_IJLi8ELi9ELi10EEEEEEENST_IJLi5ELi6ELi7ELi8ELi9ELi10EEEElEEEEES36_NS_31BlockToCTileMap_M00_N00_M01_N01ILi128ELi128ES1Y_Lb0EEENS1_30ComputePtrOffsetOfStridedBatchILi1ELi1ELi1EvEELb1ELb0EEEvPKT0_S3E_T1_PT2_T3_T4_T5_iT6_T7_T8_T9_T10_T11_
                                        ; -- End function
	.section	.AMDGPU.csdata,"",@progbits
; Kernel info:
; codeLenInByte = 1904
; NumSgprs: 102
; NumVgprs: 246
; ScratchSize: 704
; MemoryBound: 0
; FloatMode: 240
; IeeeMode: 1
; LDSByteSize: 32768 bytes/workgroup (compile time only)
; SGPRBlocks: 12
; VGPRBlocks: 30
; NumSGPRsForWavesPerEU: 102
; NumVGPRsForWavesPerEU: 246
; Occupancy: 5
; WaveLimiterHint : 1
; COMPUTE_PGM_RSRC2:SCRATCH_EN: 1
; COMPUTE_PGM_RSRC2:USER_SGPR: 15
; COMPUTE_PGM_RSRC2:TRAP_HANDLER: 0
; COMPUTE_PGM_RSRC2:TGID_X_EN: 1
; COMPUTE_PGM_RSRC2:TGID_Y_EN: 0
; COMPUTE_PGM_RSRC2:TGID_Z_EN: 0
; COMPUTE_PGM_RSRC2:TIDIG_COMP_CNT: 0
	.section	.text._ZN2ck16tensor_operation6device12_GLOBAL__N_137kernel_grouped_conv_fwd_dl_multiple_dINS_32GridwiseGemmDlMultipleD_km_kn_mnILi256EffNS_5TupleIJfEEEfNS0_12element_wise11PassThroughES8_NS7_7AddReluELNS_25InMemoryDataOperationEnumE0ENS_16TensorDescriptorINS5_IJNS_5EmbedINS5_IJiiiiiEEESD_Lb0EEENS_11PassThroughIiEENS_3PadIiiiLb0EEESI_SI_SG_SG_NSC_INS5_IJiiEEESJ_Lb0EEESK_SK_SG_NS_23Merge_v2_magic_divisionINS5_IJiiiiEEEEESN_NS_8RightPadIiiLb0EEESP_NS_7UnMergeISJ_Lb0EEESG_EEENS5_IJNS_8SequenceIJLi0EEEENST_IJLi1EEEENST_IJLi2EEEENST_IJLi3EEEENST_IJLi4EEEENST_IJLi5EEEENST_IJLi6EEEENST_IJLi7EEEENST_IJLi8EEEENST_IJLi9EEEENST_IJLi10EEEENST_IJLi11ELi13ELi15ELi17EEEENST_IJLi12ELi14ELi16ELi18EEEENST_IJLi19EEEENST_IJLi20EEEENST_IJLi22EEEENST_IJLi21EEEEEEENS5_IJNST_IJLi1ELi2ELi3ELi4ELi5EEEES10_S11_S12_S13_S14_NST_IJLi11EEEENST_IJLi12ELi13EEEENST_IJLi14ELi15EEEENST_IJLi16ELi17EEEENST_IJLi18EEEES17_S18_S1A_S19_NST_IJLi23ELi24EEEENST_IJLi25EEEEEEENST_IJLi23ELi25ELi24EEEElEENSB_INS5_IJSR_SP_SP_SR_SG_EEENS5_IJSU_SV_SW_SY_SX_EEENS5_IJNST_IJLi1ELi2EEEESX_SY_NST_IJLi5ELi6EEEES11_EEENST_IJLi5ELi7ELi6EEEElEENSB_INS5_IJSK_SP_SP_EEENS5_IJSU_SV_SW_EEENS5_IJS1P_SX_SY_EEENST_IJLi3ELi4EEEElEELi128ELi128ELi16ELi1ELi4ELi4ELi1ENST_IJLi8ELi2EEEES1Z_NST_IJLi8ELi1ELi1ELi1EEEENST_IJLi2ELi1ELi128ELi1EEEENST_IJLi1ELi2ELi0ELi3EEEES22_NST_IJLi4ELi1ELi1ELi1EEEES22_NST_IJLi1ELi1ELi1ELi1EEEES20_S21_S22_S22_S23_S22_S24_NST_IJLi0ELi1ELi2ELi3ELi4ELi5EEEELi5ELi4EEEfNS5_IJPKfEEEfS8_S8_S9_NSB_INS5_IJSE_SG_SI_SI_SI_SG_SG_SK_SK_SK_SG_SN_SN_SP_SP_SR_SG_SG_NSQ_INS5_IJiNS_17integral_constantIiLi128EEEEEELb0EEENSF_INS2A_IiLi1EEEEEEEENS5_IJSU_SV_SW_SX_SY_SZ_S10_S11_S12_S13_S14_S15_S16_S17_S18_S19_S1A_NST_IJLi23EEEES1J_NST_IJLi24EEEEEEENS5_IJS1C_S10_S11_S12_S13_S14_S1D_S1E_S1F_S1G_S1H_S17_S18_S1A_S19_S1I_S1J_NST_IJLi26EEEENST_IJLi27ELi28EEEENST_IJLi29EEEEEEENST_IJLi26ELi27ELi28ELi29EEEElEENSB_INS5_IJSR_SP_SP_SR_SG_SG_S2D_S2F_EEENS5_IJSU_SV_SW_SY_SX_SZ_S11_S10_EEENS5_IJS1P_SX_SY_S1Q_S11_S12_NST_IJLi9ELi10EEEES1D_EEENST_IJLi8ELi9ELi10ELi11EEEElEENS5_IJNSB_INS5_IJSK_SP_SP_NSQ_INS5_IJiNS2A_IiLi2EEENS2A_IiLi64EEEEEELb0EEES2Z_EEENS5_IJSU_SV_SW_SX_SY_EEENS5_IJS1P_SX_SY_NST_IJLi5ELi6ELi7EEEENST_IJLi8ELi9ELi10EEEEEEENST_IJLi5ELi6ELi7ELi8ELi9ELi10EEEElEEEEES36_NS_31BlockToCTileMap_M00_N00_M01_N01ILi128ELi128ES1Y_Lb0EEENS1_30ComputePtrOffsetOfStridedBatchILi1ELi1ELi1EvEELb0ELb1EEEvPKT0_S3E_T1_PT2_T3_T4_T5_iT6_T7_T8_T9_T10_T11_,"axG",@progbits,_ZN2ck16tensor_operation6device12_GLOBAL__N_137kernel_grouped_conv_fwd_dl_multiple_dINS_32GridwiseGemmDlMultipleD_km_kn_mnILi256EffNS_5TupleIJfEEEfNS0_12element_wise11PassThroughES8_NS7_7AddReluELNS_25InMemoryDataOperationEnumE0ENS_16TensorDescriptorINS5_IJNS_5EmbedINS5_IJiiiiiEEESD_Lb0EEENS_11PassThroughIiEENS_3PadIiiiLb0EEESI_SI_SG_SG_NSC_INS5_IJiiEEESJ_Lb0EEESK_SK_SG_NS_23Merge_v2_magic_divisionINS5_IJiiiiEEEEESN_NS_8RightPadIiiLb0EEESP_NS_7UnMergeISJ_Lb0EEESG_EEENS5_IJNS_8SequenceIJLi0EEEENST_IJLi1EEEENST_IJLi2EEEENST_IJLi3EEEENST_IJLi4EEEENST_IJLi5EEEENST_IJLi6EEEENST_IJLi7EEEENST_IJLi8EEEENST_IJLi9EEEENST_IJLi10EEEENST_IJLi11ELi13ELi15ELi17EEEENST_IJLi12ELi14ELi16ELi18EEEENST_IJLi19EEEENST_IJLi20EEEENST_IJLi22EEEENST_IJLi21EEEEEEENS5_IJNST_IJLi1ELi2ELi3ELi4ELi5EEEES10_S11_S12_S13_S14_NST_IJLi11EEEENST_IJLi12ELi13EEEENST_IJLi14ELi15EEEENST_IJLi16ELi17EEEENST_IJLi18EEEES17_S18_S1A_S19_NST_IJLi23ELi24EEEENST_IJLi25EEEEEEENST_IJLi23ELi25ELi24EEEElEENSB_INS5_IJSR_SP_SP_SR_SG_EEENS5_IJSU_SV_SW_SY_SX_EEENS5_IJNST_IJLi1ELi2EEEESX_SY_NST_IJLi5ELi6EEEES11_EEENST_IJLi5ELi7ELi6EEEElEENSB_INS5_IJSK_SP_SP_EEENS5_IJSU_SV_SW_EEENS5_IJS1P_SX_SY_EEENST_IJLi3ELi4EEEElEELi128ELi128ELi16ELi1ELi4ELi4ELi1ENST_IJLi8ELi2EEEES1Z_NST_IJLi8ELi1ELi1ELi1EEEENST_IJLi2ELi1ELi128ELi1EEEENST_IJLi1ELi2ELi0ELi3EEEES22_NST_IJLi4ELi1ELi1ELi1EEEES22_NST_IJLi1ELi1ELi1ELi1EEEES20_S21_S22_S22_S23_S22_S24_NST_IJLi0ELi1ELi2ELi3ELi4ELi5EEEELi5ELi4EEEfNS5_IJPKfEEEfS8_S8_S9_NSB_INS5_IJSE_SG_SI_SI_SI_SG_SG_SK_SK_SK_SG_SN_SN_SP_SP_SR_SG_SG_NSQ_INS5_IJiNS_17integral_constantIiLi128EEEEEELb0EEENSF_INS2A_IiLi1EEEEEEEENS5_IJSU_SV_SW_SX_SY_SZ_S10_S11_S12_S13_S14_S15_S16_S17_S18_S19_S1A_NST_IJLi23EEEES1J_NST_IJLi24EEEEEEENS5_IJS1C_S10_S11_S12_S13_S14_S1D_S1E_S1F_S1G_S1H_S17_S18_S1A_S19_S1I_S1J_NST_IJLi26EEEENST_IJLi27ELi28EEEENST_IJLi29EEEEEEENST_IJLi26ELi27ELi28ELi29EEEElEENSB_INS5_IJSR_SP_SP_SR_SG_SG_S2D_S2F_EEENS5_IJSU_SV_SW_SY_SX_SZ_S11_S10_EEENS5_IJS1P_SX_SY_S1Q_S11_S12_NST_IJLi9ELi10EEEES1D_EEENST_IJLi8ELi9ELi10ELi11EEEElEENS5_IJNSB_INS5_IJSK_SP_SP_NSQ_INS5_IJiNS2A_IiLi2EEENS2A_IiLi64EEEEEELb0EEES2Z_EEENS5_IJSU_SV_SW_SX_SY_EEENS5_IJS1P_SX_SY_NST_IJLi5ELi6ELi7EEEENST_IJLi8ELi9ELi10EEEEEEENST_IJLi5ELi6ELi7ELi8ELi9ELi10EEEElEEEEES36_NS_31BlockToCTileMap_M00_N00_M01_N01ILi128ELi128ES1Y_Lb0EEENS1_30ComputePtrOffsetOfStridedBatchILi1ELi1ELi1EvEELb0ELb1EEEvPKT0_S3E_T1_PT2_T3_T4_T5_iT6_T7_T8_T9_T10_T11_,comdat
	.globl	_ZN2ck16tensor_operation6device12_GLOBAL__N_137kernel_grouped_conv_fwd_dl_multiple_dINS_32GridwiseGemmDlMultipleD_km_kn_mnILi256EffNS_5TupleIJfEEEfNS0_12element_wise11PassThroughES8_NS7_7AddReluELNS_25InMemoryDataOperationEnumE0ENS_16TensorDescriptorINS5_IJNS_5EmbedINS5_IJiiiiiEEESD_Lb0EEENS_11PassThroughIiEENS_3PadIiiiLb0EEESI_SI_SG_SG_NSC_INS5_IJiiEEESJ_Lb0EEESK_SK_SG_NS_23Merge_v2_magic_divisionINS5_IJiiiiEEEEESN_NS_8RightPadIiiLb0EEESP_NS_7UnMergeISJ_Lb0EEESG_EEENS5_IJNS_8SequenceIJLi0EEEENST_IJLi1EEEENST_IJLi2EEEENST_IJLi3EEEENST_IJLi4EEEENST_IJLi5EEEENST_IJLi6EEEENST_IJLi7EEEENST_IJLi8EEEENST_IJLi9EEEENST_IJLi10EEEENST_IJLi11ELi13ELi15ELi17EEEENST_IJLi12ELi14ELi16ELi18EEEENST_IJLi19EEEENST_IJLi20EEEENST_IJLi22EEEENST_IJLi21EEEEEEENS5_IJNST_IJLi1ELi2ELi3ELi4ELi5EEEES10_S11_S12_S13_S14_NST_IJLi11EEEENST_IJLi12ELi13EEEENST_IJLi14ELi15EEEENST_IJLi16ELi17EEEENST_IJLi18EEEES17_S18_S1A_S19_NST_IJLi23ELi24EEEENST_IJLi25EEEEEEENST_IJLi23ELi25ELi24EEEElEENSB_INS5_IJSR_SP_SP_SR_SG_EEENS5_IJSU_SV_SW_SY_SX_EEENS5_IJNST_IJLi1ELi2EEEESX_SY_NST_IJLi5ELi6EEEES11_EEENST_IJLi5ELi7ELi6EEEElEENSB_INS5_IJSK_SP_SP_EEENS5_IJSU_SV_SW_EEENS5_IJS1P_SX_SY_EEENST_IJLi3ELi4EEEElEELi128ELi128ELi16ELi1ELi4ELi4ELi1ENST_IJLi8ELi2EEEES1Z_NST_IJLi8ELi1ELi1ELi1EEEENST_IJLi2ELi1ELi128ELi1EEEENST_IJLi1ELi2ELi0ELi3EEEES22_NST_IJLi4ELi1ELi1ELi1EEEES22_NST_IJLi1ELi1ELi1ELi1EEEES20_S21_S22_S22_S23_S22_S24_NST_IJLi0ELi1ELi2ELi3ELi4ELi5EEEELi5ELi4EEEfNS5_IJPKfEEEfS8_S8_S9_NSB_INS5_IJSE_SG_SI_SI_SI_SG_SG_SK_SK_SK_SG_SN_SN_SP_SP_SR_SG_SG_NSQ_INS5_IJiNS_17integral_constantIiLi128EEEEEELb0EEENSF_INS2A_IiLi1EEEEEEEENS5_IJSU_SV_SW_SX_SY_SZ_S10_S11_S12_S13_S14_S15_S16_S17_S18_S19_S1A_NST_IJLi23EEEES1J_NST_IJLi24EEEEEEENS5_IJS1C_S10_S11_S12_S13_S14_S1D_S1E_S1F_S1G_S1H_S17_S18_S1A_S19_S1I_S1J_NST_IJLi26EEEENST_IJLi27ELi28EEEENST_IJLi29EEEEEEENST_IJLi26ELi27ELi28ELi29EEEElEENSB_INS5_IJSR_SP_SP_SR_SG_SG_S2D_S2F_EEENS5_IJSU_SV_SW_SY_SX_SZ_S11_S10_EEENS5_IJS1P_SX_SY_S1Q_S11_S12_NST_IJLi9ELi10EEEES1D_EEENST_IJLi8ELi9ELi10ELi11EEEElEENS5_IJNSB_INS5_IJSK_SP_SP_NSQ_INS5_IJiNS2A_IiLi2EEENS2A_IiLi64EEEEEELb0EEES2Z_EEENS5_IJSU_SV_SW_SX_SY_EEENS5_IJS1P_SX_SY_NST_IJLi5ELi6ELi7EEEENST_IJLi8ELi9ELi10EEEEEEENST_IJLi5ELi6ELi7ELi8ELi9ELi10EEEElEEEEES36_NS_31BlockToCTileMap_M00_N00_M01_N01ILi128ELi128ES1Y_Lb0EEENS1_30ComputePtrOffsetOfStridedBatchILi1ELi1ELi1EvEELb0ELb1EEEvPKT0_S3E_T1_PT2_T3_T4_T5_iT6_T7_T8_T9_T10_T11_ ; -- Begin function _ZN2ck16tensor_operation6device12_GLOBAL__N_137kernel_grouped_conv_fwd_dl_multiple_dINS_32GridwiseGemmDlMultipleD_km_kn_mnILi256EffNS_5TupleIJfEEEfNS0_12element_wise11PassThroughES8_NS7_7AddReluELNS_25InMemoryDataOperationEnumE0ENS_16TensorDescriptorINS5_IJNS_5EmbedINS5_IJiiiiiEEESD_Lb0EEENS_11PassThroughIiEENS_3PadIiiiLb0EEESI_SI_SG_SG_NSC_INS5_IJiiEEESJ_Lb0EEESK_SK_SG_NS_23Merge_v2_magic_divisionINS5_IJiiiiEEEEESN_NS_8RightPadIiiLb0EEESP_NS_7UnMergeISJ_Lb0EEESG_EEENS5_IJNS_8SequenceIJLi0EEEENST_IJLi1EEEENST_IJLi2EEEENST_IJLi3EEEENST_IJLi4EEEENST_IJLi5EEEENST_IJLi6EEEENST_IJLi7EEEENST_IJLi8EEEENST_IJLi9EEEENST_IJLi10EEEENST_IJLi11ELi13ELi15ELi17EEEENST_IJLi12ELi14ELi16ELi18EEEENST_IJLi19EEEENST_IJLi20EEEENST_IJLi22EEEENST_IJLi21EEEEEEENS5_IJNST_IJLi1ELi2ELi3ELi4ELi5EEEES10_S11_S12_S13_S14_NST_IJLi11EEEENST_IJLi12ELi13EEEENST_IJLi14ELi15EEEENST_IJLi16ELi17EEEENST_IJLi18EEEES17_S18_S1A_S19_NST_IJLi23ELi24EEEENST_IJLi25EEEEEEENST_IJLi23ELi25ELi24EEEElEENSB_INS5_IJSR_SP_SP_SR_SG_EEENS5_IJSU_SV_SW_SY_SX_EEENS5_IJNST_IJLi1ELi2EEEESX_SY_NST_IJLi5ELi6EEEES11_EEENST_IJLi5ELi7ELi6EEEElEENSB_INS5_IJSK_SP_SP_EEENS5_IJSU_SV_SW_EEENS5_IJS1P_SX_SY_EEENST_IJLi3ELi4EEEElEELi128ELi128ELi16ELi1ELi4ELi4ELi1ENST_IJLi8ELi2EEEES1Z_NST_IJLi8ELi1ELi1ELi1EEEENST_IJLi2ELi1ELi128ELi1EEEENST_IJLi1ELi2ELi0ELi3EEEES22_NST_IJLi4ELi1ELi1ELi1EEEES22_NST_IJLi1ELi1ELi1ELi1EEEES20_S21_S22_S22_S23_S22_S24_NST_IJLi0ELi1ELi2ELi3ELi4ELi5EEEELi5ELi4EEEfNS5_IJPKfEEEfS8_S8_S9_NSB_INS5_IJSE_SG_SI_SI_SI_SG_SG_SK_SK_SK_SG_SN_SN_SP_SP_SR_SG_SG_NSQ_INS5_IJiNS_17integral_constantIiLi128EEEEEELb0EEENSF_INS2A_IiLi1EEEEEEEENS5_IJSU_SV_SW_SX_SY_SZ_S10_S11_S12_S13_S14_S15_S16_S17_S18_S19_S1A_NST_IJLi23EEEES1J_NST_IJLi24EEEEEEENS5_IJS1C_S10_S11_S12_S13_S14_S1D_S1E_S1F_S1G_S1H_S17_S18_S1A_S19_S1I_S1J_NST_IJLi26EEEENST_IJLi27ELi28EEEENST_IJLi29EEEEEEENST_IJLi26ELi27ELi28ELi29EEEElEENSB_INS5_IJSR_SP_SP_SR_SG_SG_S2D_S2F_EEENS5_IJSU_SV_SW_SY_SX_SZ_S11_S10_EEENS5_IJS1P_SX_SY_S1Q_S11_S12_NST_IJLi9ELi10EEEES1D_EEENST_IJLi8ELi9ELi10ELi11EEEElEENS5_IJNSB_INS5_IJSK_SP_SP_NSQ_INS5_IJiNS2A_IiLi2EEENS2A_IiLi64EEEEEELb0EEES2Z_EEENS5_IJSU_SV_SW_SX_SY_EEENS5_IJS1P_SX_SY_NST_IJLi5ELi6ELi7EEEENST_IJLi8ELi9ELi10EEEEEEENST_IJLi5ELi6ELi7ELi8ELi9ELi10EEEElEEEEES36_NS_31BlockToCTileMap_M00_N00_M01_N01ILi128ELi128ES1Y_Lb0EEENS1_30ComputePtrOffsetOfStridedBatchILi1ELi1ELi1EvEELb0ELb1EEEvPKT0_S3E_T1_PT2_T3_T4_T5_iT6_T7_T8_T9_T10_T11_
	.p2align	8
	.type	_ZN2ck16tensor_operation6device12_GLOBAL__N_137kernel_grouped_conv_fwd_dl_multiple_dINS_32GridwiseGemmDlMultipleD_km_kn_mnILi256EffNS_5TupleIJfEEEfNS0_12element_wise11PassThroughES8_NS7_7AddReluELNS_25InMemoryDataOperationEnumE0ENS_16TensorDescriptorINS5_IJNS_5EmbedINS5_IJiiiiiEEESD_Lb0EEENS_11PassThroughIiEENS_3PadIiiiLb0EEESI_SI_SG_SG_NSC_INS5_IJiiEEESJ_Lb0EEESK_SK_SG_NS_23Merge_v2_magic_divisionINS5_IJiiiiEEEEESN_NS_8RightPadIiiLb0EEESP_NS_7UnMergeISJ_Lb0EEESG_EEENS5_IJNS_8SequenceIJLi0EEEENST_IJLi1EEEENST_IJLi2EEEENST_IJLi3EEEENST_IJLi4EEEENST_IJLi5EEEENST_IJLi6EEEENST_IJLi7EEEENST_IJLi8EEEENST_IJLi9EEEENST_IJLi10EEEENST_IJLi11ELi13ELi15ELi17EEEENST_IJLi12ELi14ELi16ELi18EEEENST_IJLi19EEEENST_IJLi20EEEENST_IJLi22EEEENST_IJLi21EEEEEEENS5_IJNST_IJLi1ELi2ELi3ELi4ELi5EEEES10_S11_S12_S13_S14_NST_IJLi11EEEENST_IJLi12ELi13EEEENST_IJLi14ELi15EEEENST_IJLi16ELi17EEEENST_IJLi18EEEES17_S18_S1A_S19_NST_IJLi23ELi24EEEENST_IJLi25EEEEEEENST_IJLi23ELi25ELi24EEEElEENSB_INS5_IJSR_SP_SP_SR_SG_EEENS5_IJSU_SV_SW_SY_SX_EEENS5_IJNST_IJLi1ELi2EEEESX_SY_NST_IJLi5ELi6EEEES11_EEENST_IJLi5ELi7ELi6EEEElEENSB_INS5_IJSK_SP_SP_EEENS5_IJSU_SV_SW_EEENS5_IJS1P_SX_SY_EEENST_IJLi3ELi4EEEElEELi128ELi128ELi16ELi1ELi4ELi4ELi1ENST_IJLi8ELi2EEEES1Z_NST_IJLi8ELi1ELi1ELi1EEEENST_IJLi2ELi1ELi128ELi1EEEENST_IJLi1ELi2ELi0ELi3EEEES22_NST_IJLi4ELi1ELi1ELi1EEEES22_NST_IJLi1ELi1ELi1ELi1EEEES20_S21_S22_S22_S23_S22_S24_NST_IJLi0ELi1ELi2ELi3ELi4ELi5EEEELi5ELi4EEEfNS5_IJPKfEEEfS8_S8_S9_NSB_INS5_IJSE_SG_SI_SI_SI_SG_SG_SK_SK_SK_SG_SN_SN_SP_SP_SR_SG_SG_NSQ_INS5_IJiNS_17integral_constantIiLi128EEEEEELb0EEENSF_INS2A_IiLi1EEEEEEEENS5_IJSU_SV_SW_SX_SY_SZ_S10_S11_S12_S13_S14_S15_S16_S17_S18_S19_S1A_NST_IJLi23EEEES1J_NST_IJLi24EEEEEEENS5_IJS1C_S10_S11_S12_S13_S14_S1D_S1E_S1F_S1G_S1H_S17_S18_S1A_S19_S1I_S1J_NST_IJLi26EEEENST_IJLi27ELi28EEEENST_IJLi29EEEEEEENST_IJLi26ELi27ELi28ELi29EEEElEENSB_INS5_IJSR_SP_SP_SR_SG_SG_S2D_S2F_EEENS5_IJSU_SV_SW_SY_SX_SZ_S11_S10_EEENS5_IJS1P_SX_SY_S1Q_S11_S12_NST_IJLi9ELi10EEEES1D_EEENST_IJLi8ELi9ELi10ELi11EEEElEENS5_IJNSB_INS5_IJSK_SP_SP_NSQ_INS5_IJiNS2A_IiLi2EEENS2A_IiLi64EEEEEELb0EEES2Z_EEENS5_IJSU_SV_SW_SX_SY_EEENS5_IJS1P_SX_SY_NST_IJLi5ELi6ELi7EEEENST_IJLi8ELi9ELi10EEEEEEENST_IJLi5ELi6ELi7ELi8ELi9ELi10EEEElEEEEES36_NS_31BlockToCTileMap_M00_N00_M01_N01ILi128ELi128ES1Y_Lb0EEENS1_30ComputePtrOffsetOfStridedBatchILi1ELi1ELi1EvEELb0ELb1EEEvPKT0_S3E_T1_PT2_T3_T4_T5_iT6_T7_T8_T9_T10_T11_,@function
_ZN2ck16tensor_operation6device12_GLOBAL__N_137kernel_grouped_conv_fwd_dl_multiple_dINS_32GridwiseGemmDlMultipleD_km_kn_mnILi256EffNS_5TupleIJfEEEfNS0_12element_wise11PassThroughES8_NS7_7AddReluELNS_25InMemoryDataOperationEnumE0ENS_16TensorDescriptorINS5_IJNS_5EmbedINS5_IJiiiiiEEESD_Lb0EEENS_11PassThroughIiEENS_3PadIiiiLb0EEESI_SI_SG_SG_NSC_INS5_IJiiEEESJ_Lb0EEESK_SK_SG_NS_23Merge_v2_magic_divisionINS5_IJiiiiEEEEESN_NS_8RightPadIiiLb0EEESP_NS_7UnMergeISJ_Lb0EEESG_EEENS5_IJNS_8SequenceIJLi0EEEENST_IJLi1EEEENST_IJLi2EEEENST_IJLi3EEEENST_IJLi4EEEENST_IJLi5EEEENST_IJLi6EEEENST_IJLi7EEEENST_IJLi8EEEENST_IJLi9EEEENST_IJLi10EEEENST_IJLi11ELi13ELi15ELi17EEEENST_IJLi12ELi14ELi16ELi18EEEENST_IJLi19EEEENST_IJLi20EEEENST_IJLi22EEEENST_IJLi21EEEEEEENS5_IJNST_IJLi1ELi2ELi3ELi4ELi5EEEES10_S11_S12_S13_S14_NST_IJLi11EEEENST_IJLi12ELi13EEEENST_IJLi14ELi15EEEENST_IJLi16ELi17EEEENST_IJLi18EEEES17_S18_S1A_S19_NST_IJLi23ELi24EEEENST_IJLi25EEEEEEENST_IJLi23ELi25ELi24EEEElEENSB_INS5_IJSR_SP_SP_SR_SG_EEENS5_IJSU_SV_SW_SY_SX_EEENS5_IJNST_IJLi1ELi2EEEESX_SY_NST_IJLi5ELi6EEEES11_EEENST_IJLi5ELi7ELi6EEEElEENSB_INS5_IJSK_SP_SP_EEENS5_IJSU_SV_SW_EEENS5_IJS1P_SX_SY_EEENST_IJLi3ELi4EEEElEELi128ELi128ELi16ELi1ELi4ELi4ELi1ENST_IJLi8ELi2EEEES1Z_NST_IJLi8ELi1ELi1ELi1EEEENST_IJLi2ELi1ELi128ELi1EEEENST_IJLi1ELi2ELi0ELi3EEEES22_NST_IJLi4ELi1ELi1ELi1EEEES22_NST_IJLi1ELi1ELi1ELi1EEEES20_S21_S22_S22_S23_S22_S24_NST_IJLi0ELi1ELi2ELi3ELi4ELi5EEEELi5ELi4EEEfNS5_IJPKfEEEfS8_S8_S9_NSB_INS5_IJSE_SG_SI_SI_SI_SG_SG_SK_SK_SK_SG_SN_SN_SP_SP_SR_SG_SG_NSQ_INS5_IJiNS_17integral_constantIiLi128EEEEEELb0EEENSF_INS2A_IiLi1EEEEEEEENS5_IJSU_SV_SW_SX_SY_SZ_S10_S11_S12_S13_S14_S15_S16_S17_S18_S19_S1A_NST_IJLi23EEEES1J_NST_IJLi24EEEEEEENS5_IJS1C_S10_S11_S12_S13_S14_S1D_S1E_S1F_S1G_S1H_S17_S18_S1A_S19_S1I_S1J_NST_IJLi26EEEENST_IJLi27ELi28EEEENST_IJLi29EEEEEEENST_IJLi26ELi27ELi28ELi29EEEElEENSB_INS5_IJSR_SP_SP_SR_SG_SG_S2D_S2F_EEENS5_IJSU_SV_SW_SY_SX_SZ_S11_S10_EEENS5_IJS1P_SX_SY_S1Q_S11_S12_NST_IJLi9ELi10EEEES1D_EEENST_IJLi8ELi9ELi10ELi11EEEElEENS5_IJNSB_INS5_IJSK_SP_SP_NSQ_INS5_IJiNS2A_IiLi2EEENS2A_IiLi64EEEEEELb0EEES2Z_EEENS5_IJSU_SV_SW_SX_SY_EEENS5_IJS1P_SX_SY_NST_IJLi5ELi6ELi7EEEENST_IJLi8ELi9ELi10EEEEEEENST_IJLi5ELi6ELi7ELi8ELi9ELi10EEEElEEEEES36_NS_31BlockToCTileMap_M00_N00_M01_N01ILi128ELi128ES1Y_Lb0EEENS1_30ComputePtrOffsetOfStridedBatchILi1ELi1ELi1EvEELb0ELb1EEEvPKT0_S3E_T1_PT2_T3_T4_T5_iT6_T7_T8_T9_T10_T11_: ; @_ZN2ck16tensor_operation6device12_GLOBAL__N_137kernel_grouped_conv_fwd_dl_multiple_dINS_32GridwiseGemmDlMultipleD_km_kn_mnILi256EffNS_5TupleIJfEEEfNS0_12element_wise11PassThroughES8_NS7_7AddReluELNS_25InMemoryDataOperationEnumE0ENS_16TensorDescriptorINS5_IJNS_5EmbedINS5_IJiiiiiEEESD_Lb0EEENS_11PassThroughIiEENS_3PadIiiiLb0EEESI_SI_SG_SG_NSC_INS5_IJiiEEESJ_Lb0EEESK_SK_SG_NS_23Merge_v2_magic_divisionINS5_IJiiiiEEEEESN_NS_8RightPadIiiLb0EEESP_NS_7UnMergeISJ_Lb0EEESG_EEENS5_IJNS_8SequenceIJLi0EEEENST_IJLi1EEEENST_IJLi2EEEENST_IJLi3EEEENST_IJLi4EEEENST_IJLi5EEEENST_IJLi6EEEENST_IJLi7EEEENST_IJLi8EEEENST_IJLi9EEEENST_IJLi10EEEENST_IJLi11ELi13ELi15ELi17EEEENST_IJLi12ELi14ELi16ELi18EEEENST_IJLi19EEEENST_IJLi20EEEENST_IJLi22EEEENST_IJLi21EEEEEEENS5_IJNST_IJLi1ELi2ELi3ELi4ELi5EEEES10_S11_S12_S13_S14_NST_IJLi11EEEENST_IJLi12ELi13EEEENST_IJLi14ELi15EEEENST_IJLi16ELi17EEEENST_IJLi18EEEES17_S18_S1A_S19_NST_IJLi23ELi24EEEENST_IJLi25EEEEEEENST_IJLi23ELi25ELi24EEEElEENSB_INS5_IJSR_SP_SP_SR_SG_EEENS5_IJSU_SV_SW_SY_SX_EEENS5_IJNST_IJLi1ELi2EEEESX_SY_NST_IJLi5ELi6EEEES11_EEENST_IJLi5ELi7ELi6EEEElEENSB_INS5_IJSK_SP_SP_EEENS5_IJSU_SV_SW_EEENS5_IJS1P_SX_SY_EEENST_IJLi3ELi4EEEElEELi128ELi128ELi16ELi1ELi4ELi4ELi1ENST_IJLi8ELi2EEEES1Z_NST_IJLi8ELi1ELi1ELi1EEEENST_IJLi2ELi1ELi128ELi1EEEENST_IJLi1ELi2ELi0ELi3EEEES22_NST_IJLi4ELi1ELi1ELi1EEEES22_NST_IJLi1ELi1ELi1ELi1EEEES20_S21_S22_S22_S23_S22_S24_NST_IJLi0ELi1ELi2ELi3ELi4ELi5EEEELi5ELi4EEEfNS5_IJPKfEEEfS8_S8_S9_NSB_INS5_IJSE_SG_SI_SI_SI_SG_SG_SK_SK_SK_SG_SN_SN_SP_SP_SR_SG_SG_NSQ_INS5_IJiNS_17integral_constantIiLi128EEEEEELb0EEENSF_INS2A_IiLi1EEEEEEEENS5_IJSU_SV_SW_SX_SY_SZ_S10_S11_S12_S13_S14_S15_S16_S17_S18_S19_S1A_NST_IJLi23EEEES1J_NST_IJLi24EEEEEEENS5_IJS1C_S10_S11_S12_S13_S14_S1D_S1E_S1F_S1G_S1H_S17_S18_S1A_S19_S1I_S1J_NST_IJLi26EEEENST_IJLi27ELi28EEEENST_IJLi29EEEEEEENST_IJLi26ELi27ELi28ELi29EEEElEENSB_INS5_IJSR_SP_SP_SR_SG_SG_S2D_S2F_EEENS5_IJSU_SV_SW_SY_SX_SZ_S11_S10_EEENS5_IJS1P_SX_SY_S1Q_S11_S12_NST_IJLi9ELi10EEEES1D_EEENST_IJLi8ELi9ELi10ELi11EEEElEENS5_IJNSB_INS5_IJSK_SP_SP_NSQ_INS5_IJiNS2A_IiLi2EEENS2A_IiLi64EEEEEELb0EEES2Z_EEENS5_IJSU_SV_SW_SX_SY_EEENS5_IJS1P_SX_SY_NST_IJLi5ELi6ELi7EEEENST_IJLi8ELi9ELi10EEEEEEENST_IJLi5ELi6ELi7ELi8ELi9ELi10EEEElEEEEES36_NS_31BlockToCTileMap_M00_N00_M01_N01ILi128ELi128ES1Y_Lb0EEENS1_30ComputePtrOffsetOfStridedBatchILi1ELi1ELi1EvEELb0ELb1EEEvPKT0_S3E_T1_PT2_T3_T4_T5_iT6_T7_T8_T9_T10_T11_
; %bb.0:
	s_clause 0x5
	s_load_b32 s2, s[0:1], 0x24
	s_load_b128 s[48:51], s[0:1], 0x3c
	s_load_b32 s14, s[0:1], 0x4c
	s_load_b32 s4, s[0:1], 0x300
	s_load_b256 s[36:43], s[0:1], 0x2d8
	s_load_b128 s[72:75], s[0:1], 0x2c0
	v_lshrrev_b32_e32 v80, 1, v0
	s_mov_b32 s47, 0x31004000
	v_dual_mov_b32 v39, 0 :: v_dual_lshlrev_b32 v82, 1, v0
	s_mov_b32 s55, s47
	v_lshrrev_b32_e32 v81, 5, v0
	v_mov_b32_e32 v37, 0
	v_dual_mov_b32 v47, 0 :: v_dual_mov_b32 v76, 0
	v_dual_mov_b32 v41, 0 :: v_dual_mov_b32 v74, 0
	s_delay_alu instid0(VALU_DEP_4)
	v_dual_mov_b32 v31, 0 :: v_dual_lshlrev_b32 v84, 6, v81
	v_mov_b32_e32 v70, 0
	s_waitcnt lgkmcnt(0)
	s_abs_i32 s3, s2
	v_dual_mov_b32 v29, 0 :: v_dual_mov_b32 v72, 0
	v_cvt_f32_u32_e32 v1, s3
	s_sub_i32 s6, 0, s3
	s_abs_i32 s7, s4
	s_xor_b32 s2, s4, s2
	v_dual_mov_b32 v79, 0 :: v_dual_mov_b32 v62, 0
	v_rcp_iflag_f32_e32 v1, v1
	s_ashr_i32 s2, s2, 31
	v_dual_mov_b32 v77, 0 :: v_dual_mov_b32 v60, 0
	v_dual_mov_b32 v75, 0 :: v_dual_mov_b32 v50, 0
	;; [unrolled: 1-line block ×4, first 2 shown]
	s_waitcnt_depctr 0xfff
	v_mul_f32_e32 v1, 0x4f7ffffe, v1
	v_dual_mov_b32 v45, 0 :: v_dual_mov_b32 v48, 0
	v_dual_mov_b32 v49, 0 :: v_dual_mov_b32 v42, 0
	s_delay_alu instid0(VALU_DEP_3) | instskip(SKIP_2) | instid1(VALU_DEP_3)
	v_cvt_u32_f32_e32 v1, v1
	v_dual_mov_b32 v51, 0 :: v_dual_mov_b32 v32, 0
	v_dual_mov_b32 v34, 0 :: v_dual_mov_b32 v35, 0
	v_readfirstlane_b32 s5, v1
	v_dual_mov_b32 v33, 0 :: v_dual_mov_b32 v26, 0
	v_dual_mov_b32 v23, 0 :: v_dual_mov_b32 v24, 0
	s_delay_alu instid0(VALU_DEP_3)
	s_mul_i32 s6, s6, s5
	v_dual_mov_b32 v71, 0 :: v_dual_mov_b32 v64, 0
	s_mul_hi_u32 s6, s5, s6
	v_dual_mov_b32 v73, 0 :: v_dual_mov_b32 v56, 0
	s_add_i32 s5, s5, s6
	v_dual_mov_b32 v65, 0 :: v_dual_mov_b32 v52, 0
	s_mul_hi_u32 s5, s7, s5
	v_dual_mov_b32 v55, 0 :: v_dual_mov_b32 v44, 0
	s_mul_i32 s4, s5, s3
	s_add_i32 s6, s5, 1
	s_sub_i32 s4, s7, s4
	v_dual_mov_b32 v53, 0 :: v_dual_mov_b32 v36, 0
	s_sub_i32 s7, s4, s3
	s_cmp_ge_u32 s4, s3
	v_mov_b32_e32 v68, 0
	s_cselect_b32 s5, s6, s5
	s_cselect_b32 s4, s7, s4
	s_add_i32 s6, s5, 1
	s_cmp_ge_u32 s4, s3
	s_load_b32 s54, s[0:1], 0x28c
	s_cselect_b32 s3, s6, s5
	s_abs_i32 s33, s15
	s_xor_b32 s3, s3, s2
	s_clause 0x2
	s_load_b256 s[24:31], s[0:1], 0x0
	s_load_b256 s[16:23], s[0:1], 0x54
	;; [unrolled: 1-line block ×3, first 2 shown]
	s_sub_i32 s2, s3, s2
	s_load_b128 s[56:59], s[0:1], 0x10c
	s_waitcnt lgkmcnt(0)
	s_clause 0x1
	s_load_b32 s11, s[0:1], 0x120
	s_load_b32 s7, s[0:1], 0x12c
	s_abs_i32 s3, s2
	s_xor_b32 s2, s15, s2
	v_cvt_f32_u32_e32 v1, s3
	s_sub_i32 s13, 0, s3
	s_ashr_i32 s2, s2, 31
	s_clause 0x2
	s_load_b128 s[60:63], s[0:1], 0x298
	s_load_b128 s[68:71], s[0:1], 0x2ac
	s_load_b32 s59, s[0:1], 0x13c
	v_rcp_iflag_f32_e32 v1, v1
	v_mov_b32_e32 v66, 0
	v_dual_mov_b32 v58, 0 :: v_dual_mov_b32 v69, 0
	v_dual_mov_b32 v67, 0 :: v_dual_mov_b32 v54, 0
	v_mov_b32_e32 v46, 0
	v_dual_mov_b32 v30, 0 :: v_dual_mov_b32 v57, 0
	s_waitcnt_depctr 0xfff
	v_dual_mov_b32 v28, 0 :: v_dual_mul_f32 v1, 0x4f7ffffe, v1
	v_mov_b32_e32 v61, 0
	v_dual_mov_b32 v43, 0 :: v_dual_mov_b32 v78, 0
	v_and_b32_e32 v86, 0x1f8, v82
	s_delay_alu instid0(VALU_DEP_4) | instskip(SKIP_1) | instid1(VALU_DEP_3)
	v_cvt_u32_f32_e32 v1, v1
	v_and_b32_e32 v82, 0x1fc, v82
	v_sub_nc_u32_e32 v111, v86, v84
	s_delay_alu instid0(VALU_DEP_3) | instskip(SKIP_3) | instid1(VALU_DEP_4)
	v_readfirstlane_b32 s12, v1
	v_lshlrev_b32_e32 v1, 3, v0
	v_lshlrev_b32_e32 v0, 2, v0
	v_sub_nc_u32_e32 v82, v82, v86
	s_mul_i32 s13, s13, s12
	s_delay_alu instid0(VALU_DEP_3) | instskip(SKIP_1) | instid1(VALU_DEP_2)
	v_and_b32_e32 v1, 8, v1
	s_mul_hi_u32 s13, s12, s13
	v_lshl_add_u32 v81, v81, 3, v82
	s_add_i32 s12, s12, s13
	s_delay_alu instid0(SALU_CYCLE_1)
	s_mul_hi_u32 s12, s33, s12
	v_or_b32_e32 v3, 4, v1
	s_mul_i32 s13, s12, s3
	v_lshlrev_b32_e32 v82, 2, v81
	s_sub_i32 s13, s33, s13
	s_add_i32 s33, s12, 1
	s_sub_i32 s34, s13, s3
	s_cmp_ge_u32 s13, s3
	s_cselect_b32 s12, s33, s12
	s_cselect_b32 s13, s34, s13
	s_add_i32 s33, s12, 1
	s_cmp_ge_u32 s13, s3
	s_cselect_b32 s3, s33, s12
	s_waitcnt lgkmcnt(0)
	s_mul_hi_u32 s33, s71, s15
	s_xor_b32 s3, s3, s2
	s_delay_alu instid0(SALU_CYCLE_1) | instskip(NEXT) | instid1(SALU_CYCLE_1)
	s_sub_i32 s46, s3, s2
	s_ashr_i32 s3, s46, 31
	s_mul_hi_u32 s13, s36, s46
	s_mul_i32 s34, s37, s46
	s_mul_i32 s2, s36, s46
	;; [unrolled: 1-line block ×3, first 2 shown]
	s_mul_hi_u32 s39, s42, s46
	s_mul_hi_u32 s44, s40, s46
	s_mul_i32 s36, s36, s3
	s_mul_i32 s45, s38, s3
	;; [unrolled: 1-line block ×5, first 2 shown]
	s_add_i32 s13, s13, s36
	s_add_i32 s36, s39, s52
	;; [unrolled: 1-line block ×3, first 2 shown]
	s_mul_hi_u32 s35, s38, s46
	s_mul_i32 s12, s40, s46
	s_add_i32 s3, s13, s34
	s_add_i32 s13, s39, s41
	s_mul_i32 s43, s43, s46
	s_add_i32 s35, s35, s45
	s_lshl_b64 s[12:13], s[12:13], 2
	s_add_i32 s35, s35, s37
	s_add_i32 s37, s36, s43
	s_add_u32 s40, s28, s12
	s_addc_u32 s41, s29, s13
	s_lshl_b64 s[2:3], s[2:3], 2
	s_mul_i32 s34, s38, s46
	s_add_u32 s44, s24, s2
	s_addc_u32 s45, s25, s3
	s_lshl_b64 s[2:3], s[34:35], 2
	s_mul_i32 s36, s42, s46
	s_add_u32 s52, s26, s2
	s_addc_u32 s53, s27, s3
	s_lshl_b64 s[2:3], s[36:37], 2
	s_delay_alu instid0(SALU_CYCLE_1)
	s_add_u32 s36, s30, s2
	s_addc_u32 s37, s31, s3
	s_add_i32 s24, s15, s33
	s_clause 0x2
	s_load_b64 s[12:13], s[0:1], 0x88
	s_load_b64 s[2:3], s[0:1], 0x98
	;; [unrolled: 1-line block ×3, first 2 shown]
	s_lshr_b32 s43, s24, s75
	s_load_b256 s[24:31], s[0:1], 0xb8
	s_waitcnt lgkmcnt(0)
	s_mul_hi_u32 s27, s43, s70
	s_clause 0x1
	s_load_b32 s31, s[0:1], 0x27c
	s_load_b128 s[64:67], s[0:1], 0xd8
	v_mul_lo_u32 v3, s59, v3
	s_add_i32 s27, s43, s27
	v_mul_lo_u32 v2, s59, v1
	s_lshr_b32 s46, s27, s74
	s_sub_i32 s19, s19, s21
	s_mul_hi_u32 s27, s46, s69
	s_mul_i32 s33, s46, s62
	s_add_i32 s27, s46, s27
	v_mul_hi_u32 v5, v3, s10
	s_waitcnt lgkmcnt(0)
	s_lshr_b32 s67, s27, s73
	v_mul_hi_u32 v4, v2, s10
	s_mul_hi_u32 s27, s67, s68
	s_sub_i32 s33, s43, s33
	s_add_i32 s27, s67, s27
	s_mul_i32 s43, s43, s63
	s_lshr_b32 s27, s27, s72
	v_add_nc_u32_e32 v5, v3, v5
	s_mul_i32 s27, s27, s60
	v_add_nc_u32_e32 v4, v2, v4
	s_sub_i32 s27, s67, s27
	s_clause 0x4
	s_load_b32 s60, s[0:1], 0x160
	s_load_b32 s62, s[0:1], 0x170
	;; [unrolled: 1-line block ×5, first 2 shown]
	v_lshrrev_b32_e32 v5, s58, v5
	s_mul_i32 s27, s27, s31
	v_lshrrev_b32_e32 v6, s58, v4
	s_add_i32 s33, s33, s27
	s_mul_i32 s67, s67, s61
	s_lshl_b32 s33, s33, 7
	v_mul_hi_u32 v9, v5, s9
	v_or_b32_e32 v4, s33, v80
	v_mul_hi_u32 v8, v6, s9
	v_mul_lo_u32 v11, v5, s6
	v_mul_lo_u32 v7, v6, s6
	s_sub_i32 s15, s15, s43
	v_mul_hi_u32 v10, v4, s30
	s_clause 0x2
	s_load_b32 s68, s[0:1], 0x1c0
	s_load_b64 s[30:31], s[0:1], 0x1d0
	s_load_b32 s27, s[0:1], 0x1dc
	v_add_nc_u32_e32 v9, v5, v9
	s_sub_i32 s16, s16, s18
	v_add_nc_u32_e32 v8, v6, v8
	v_sub_nc_u32_e32 v99, v3, v11
	v_sub_nc_u32_e32 v7, v2, v7
	v_lshrrev_b32_e32 v9, s57, v9
	v_add_nc_u32_e32 v10, v4, v10
	v_lshrrev_b32_e32 v8, s57, v8
	s_waitcnt lgkmcnt(0)
	v_mul_lo_u32 v13, s42, v1
	v_mul_lo_u32 v17, v7, s14
	v_mul_hi_u32 v12, v9, s8
	v_lshrrev_b32_e32 v10, s66, v10
	v_mul_lo_u32 v15, v9, s5
	v_mul_hi_u32 v11, v8, s8
	v_mul_lo_u32 v14, v8, s5
	v_sub_nc_u32_e32 v7, v99, v7
	v_mul_hi_u32 v16, v10, s29
	s_mov_b32 s43, s47
	v_add_nc_u32_e32 v12, v9, v12
	v_sub_nc_u32_e32 v97, v5, v15
	v_add_nc_u32_e32 v11, v8, v11
	v_sub_nc_u32_e32 v6, v6, v14
	s_delay_alu instid0(VALU_DEP_4)
	v_lshrrev_b32_e32 v100, s56, v12
	v_add_nc_u32_e32 v5, v10, v16
	v_mul_lo_u32 v12, v7, s14
	v_lshrrev_b32_e32 v11, s56, v11
	v_sub_nc_u32_e32 v7, v97, v6
	v_mul_lo_u32 v15, v100, s4
	v_lshrrev_b32_e32 v18, s65, v5
	v_mul_lo_u32 v5, v6, s34
	v_mul_lo_u32 v14, v11, s4
	;; [unrolled: 1-line block ×4, first 2 shown]
	v_mul_hi_u32 v19, v18, s28
	v_sub_nc_u32_e32 v16, v100, v11
	v_sub_nc_u32_e32 v103, v9, v15
	v_mul_lo_u32 v9, v10, s26
	s_sub_i32 s26, s46, s67
	v_sub_nc_u32_e32 v8, v8, v14
	v_mul_lo_u32 v11, v18, s25
	s_mul_i32 s26, s26, s54
	v_add_nc_u32_e32 v7, v18, v19
	s_add_i32 s15, s15, s26
	v_mul_lo_u32 v102, v16, s12
	v_sub_nc_u32_e32 v9, v4, v9
	s_lshl_b32 s15, s15, 7
	v_lshrrev_b32_e32 v19, s64, v7
	v_mul_lo_u32 v7, v8, s2
	v_sub_nc_u32_e32 v10, v10, v11
	v_mad_u64_u32 v[14:15], null, v9, s35, v[5:6]
	s_delay_alu instid0(VALU_DEP_4) | instskip(SKIP_4) | instid1(VALU_DEP_4)
	v_mul_lo_u32 v20, v19, s24
	v_or_b32_e32 v104, s15, v80
	v_sub_nc_u32_e32 v9, v103, v8
	v_mul_lo_u32 v11, v102, s49
	v_mad_u64_u32 v[15:16], null, v10, s3, v[7:8]
	v_mad_u64_u32 v[7:8], null, v104, s62, v[13:14]
	v_sub_nc_u32_e32 v5, v18, v20
	v_mul_lo_u32 v105, v9, s2
	v_mul_lo_u32 v10, v101, s51
	v_mul_lo_u32 v16, v19, s48
	s_lshl_b32 s24, s42, 2
	s_lshl_b32 s54, s68, 2
	v_mad_u64_u32 v[95:96], null, v5, s13, v[6:7]
	v_subrev_nc_u32_e32 v5, s23, v14
	v_subrev_nc_u32_e32 v6, s20, v15
	v_mul_lo_u32 v19, v105, s50
	v_add_nc_u32_e32 v106, s24, v7
	v_add3_u32 v21, v10, v12, v11
	v_mul_lo_u32 v5, v5, s51
	v_mul_lo_u32 v6, v6, s50
	v_subrev_nc_u32_e32 v8, s17, v95
	v_lshlrev_b32_e32 v9, 2, v7
	v_lshlrev_b32_e32 v20, 2, v106
	s_lshl_b32 s46, s60, 2
	v_lshlrev_b32_e32 v80, 2, v80
	v_mul_lo_u32 v18, v8, s49
	v_cmp_gt_i32_e64 s3, s7, v2
	v_add3_u32 v17, v5, v17, v6
	s_clause 0x1
	buffer_load_b128 v[5:8], v9, s[52:55], 0 offen
	buffer_load_b128 v[9:12], v20, s[52:55], 0 offen
	v_lshl_or_b32 v84, v1, 9, v80
	v_and_or_b32 v80, v0, 4, v111
	s_load_b32 s13, s[0:1], 0x74
	v_add3_u32 v16, v17, v16, v18
	s_mul_i32 s42, s42, 12
	v_cmp_gt_i32_e32 vcc_lo, s39, v104
	v_mov_b32_e32 v18, 0
	v_mov_b32_e32 v20, 0
	v_add3_u32 v107, v21, v19, v16
	v_dual_mov_b32 v21, 0 :: v_dual_lshlrev_b32 v16, 2, v16
	s_mov_b32 s39, s47
	s_delay_alu instid0(VALU_DEP_2)
	v_lshlrev_b32_e32 v17, 2, v107
	s_clause 0x1
	buffer_load_b128 v[87:90], v16, s[44:47], 0 offen
	buffer_load_b128 v[91:94], v17, s[44:47], 0 offen
	v_or_b32_e32 v17, 16, v1
	v_mov_b32_e32 v16, 0
	s_waitcnt lgkmcnt(0)
	s_sub_i32 s13, s22, s13
	s_delay_alu instid0(VALU_DEP_2) | instskip(SKIP_1) | instid1(VALU_DEP_1)
	v_mul_lo_u32 v108, s59, v17
	v_or_b32_e32 v17, 20, v1
	v_mul_lo_u32 v109, s59, v17
	v_mov_b32_e32 v17, 0
	s_delay_alu instid0(VALU_DEP_4) | instskip(SKIP_1) | instid1(VALU_DEP_4)
	v_mul_hi_u32 v22, v108, s10
	v_mov_b32_e32 v19, 0
	v_mul_hi_u32 v25, v109, s10
	v_cmp_gt_i32_e64 s10, s13, v14
	s_delay_alu instid0(VALU_DEP_4) | instskip(NEXT) | instid1(VALU_DEP_1)
	v_add_nc_u32_e32 v22, v108, v22
	v_lshrrev_b32_e32 v85, s58, v22
	s_delay_alu instid0(VALU_DEP_4) | instskip(NEXT) | instid1(VALU_DEP_2)
	v_dual_mov_b32 v22, 0 :: v_dual_add_nc_u32 v25, v109, v25
	v_mul_hi_u32 v27, v85, s9
	s_delay_alu instid0(VALU_DEP_2) | instskip(SKIP_2) | instid1(VALU_DEP_3)
	v_lshrrev_b32_e32 v110, s58, v25
	v_mov_b32_e32 v25, 0
	v_mul_lo_u32 v0, v85, s6
	v_mul_hi_u32 v83, v110, s9
	v_cmp_le_i32_e64 s9, s23, v14
	v_add_nc_u32_e32 v27, v85, v27
	s_delay_alu instid0(VALU_DEP_4) | instskip(NEXT) | instid1(VALU_DEP_3)
	v_sub_nc_u32_e32 v0, v108, v0
	s_and_b32 s9, s9, s10
	s_delay_alu instid0(VALU_DEP_2) | instskip(SKIP_2) | instid1(VALU_DEP_3)
	v_lshrrev_b32_e32 v96, s57, v27
	v_add_nc_u32_e32 v83, v110, v83
	v_mov_b32_e32 v27, 0
	v_mul_hi_u32 v98, v96, s8
	s_delay_alu instid0(VALU_DEP_3) | instskip(SKIP_1) | instid1(VALU_DEP_2)
	v_lshrrev_b32_e32 v112, s57, v83
	v_lshlrev_b32_e32 v83, 2, v80
	v_mul_hi_u32 v86, v112, s8
	s_delay_alu instid0(VALU_DEP_4) | instskip(NEXT) | instid1(VALU_DEP_1)
	v_add_nc_u32_e32 v1, v96, v98
	v_lshrrev_b32_e32 v111, s56, v1
	v_mul_lo_u32 v1, v96, s5
	s_delay_alu instid0(VALU_DEP_4) | instskip(NEXT) | instid1(VALU_DEP_3)
	v_add_nc_u32_e32 v113, v112, v86
	v_mul_lo_u32 v98, v111, s4
	s_delay_alu instid0(VALU_DEP_3) | instskip(NEXT) | instid1(VALU_DEP_2)
	v_sub_nc_u32_e32 v1, v85, v1
	v_sub_nc_u32_e32 v2, v96, v98
	s_delay_alu instid0(VALU_DEP_2) | instskip(SKIP_2) | instid1(VALU_DEP_4)
	v_mad_u64_u32 v[85:86], null, v110, s6, v[0:1]
	v_lshrrev_b32_e32 v86, s56, v113
	v_sub_nc_u32_e32 v113, v1, v97
	v_mad_u64_u32 v[96:97], null, v112, s5, v[1:2]
	v_sub_nc_u32_e32 v1, v0, v99
	s_delay_alu instid0(VALU_DEP_4)
	v_mad_u64_u32 v[97:98], null, v86, s4, v[2:3]
	v_sub_nc_u32_e32 v0, v111, v100
	v_sub_nc_u32_e32 v85, v109, v85
	;; [unrolled: 1-line block ×5, first 2 shown]
	v_mul_lo_u32 v110, v0, s12
	v_sub_nc_u32_e32 v97, v112, v97
	v_mul_lo_u32 v86, v86, s12
	v_mul_lo_u32 v0, v85, s14
	;; [unrolled: 1-line block ×9, first 2 shown]
	v_cmp_gt_i32_e64 s2, s11, v4
	v_mad_u64_u32 v[1:2], null, v96, s51, v[0:1]
	v_mul_lo_u32 v0, v97, s50
	v_cmp_gt_i32_e64 s4, s7, v3
	v_mul_lo_u32 v99, v98, s51
	v_cmp_gt_i32_e64 s5, s38, v13
	v_add_nc_u32_e32 v13, s24, v13
	s_and_b32 s14, s3, s9
	v_mul_lo_u32 v3, v111, s50
	v_add_nc_u32_e32 v4, s42, v106
	v_add3_u32 v0, v1, v103, v0
	v_add_nc_u32_e32 v1, v14, v101
	v_add3_u32 v2, v99, v85, v100
	v_cmp_gt_i32_e64 s8, s38, v13
	v_add_nc_u32_e32 v85, s42, v13
	v_add_nc_u32_e32 v13, v15, v105
	v_cmp_le_i32_e64 s11, s23, v1
	v_cmp_gt_i32_e64 s12, s13, v1
	v_add_nc_u32_e32 v1, v1, v98
	v_add_nc_u32_e32 v103, v95, v102
	v_add3_u32 v2, v2, v3, v107
	v_cmp_gt_i32_e64 s6, s7, v108
	s_and_b32 s10, s11, s12
	v_cmp_le_i32_e64 s3, s23, v1
	v_cmp_gt_i32_e64 s9, s13, v1
	v_add_nc_u32_e32 v1, v1, v96
	s_and_b32 s18, s4, s10
	v_cmp_le_i32_e64 s4, s20, v15
	v_cmp_gt_i32_e64 s10, s19, v15
	s_and_b32 s21, s3, s9
	v_cmp_gt_i32_e64 s9, s13, v1
	v_cmp_le_i32_e64 s11, s17, v95
	v_cmp_gt_i32_e64 s12, s16, v95
	s_and_b32 s13, s4, s10
	v_cmp_le_i32_e64 s4, s20, v13
	v_cmp_gt_i32_e64 s10, s19, v13
	s_and_b32 s22, s14, s13
	v_cmp_le_i32_e64 s13, s17, v103
	v_cmp_gt_i32_e64 s14, s16, v103
	v_lshlrev_b32_e32 v3, 2, v2
	s_and_b32 s4, s4, s10
	s_and_b32 s10, s11, s12
	;; [unrolled: 1-line block ×3, first 2 shown]
	s_and_b32 s4, s5, vcc_lo
	s_and_b32 s10, s22, s10
	s_and_b32 s12, s13, s14
	v_add_lshl_u32 v0, v0, v2, 2
	s_and_b32 s5, s11, s12
	v_cmp_le_i32_e64 s3, s23, v1
	v_add_nc_u32_e32 v1, v13, v111
	v_cmp_gt_i32_e64 s7, s7, v109
	v_lshlrev_b32_e32 v99, 2, v4
	v_add_lshl_u32 v100, v4, s24, 2
	v_add_nc_u32_e32 v103, v103, v110
	s_and_b32 s6, s6, s21
	s_waitcnt vmcnt(3)
	v_cndmask_b32_e64 v8, 0, v8, s4
	v_cndmask_b32_e64 v7, 0, v7, s4
	;; [unrolled: 1-line block ×4, first 2 shown]
	s_and_b32 s4, s8, vcc_lo
	s_waitcnt vmcnt(2)
	v_cndmask_b32_e64 v10, 0, v10, s4
	v_cndmask_b32_e64 v9, 0, v9, s4
	;; [unrolled: 1-line block ×4, first 2 shown]
	s_and_b32 s4, s2, s10
	ds_store_2addr_stride64_b32 v84, v5, v6 offset0:64 offset1:66
	ds_store_2addr_stride64_b32 v84, v7, v8 offset0:68 offset1:70
	;; [unrolled: 1-line block ×3, first 2 shown]
	s_waitcnt vmcnt(1)
	v_cndmask_b32_e64 v5, 0, v90, s4
	v_cndmask_b32_e64 v6, 0, v89, s4
	;; [unrolled: 1-line block ×4, first 2 shown]
	s_and_b32 s4, s2, s5
	s_and_b32 s5, s3, s9
	s_waitcnt vmcnt(0)
	v_cndmask_b32_e64 v10, 0, v92, s4
	v_cndmask_b32_e64 v13, 0, v91, s4
	;; [unrolled: 1-line block ×4, first 2 shown]
	ds_store_2addr_stride64_b32 v84, v11, v12 offset0:76 offset1:78
	ds_store_2addr_stride64_b32 v84, v8, v7 offset1:2
	ds_store_2addr_stride64_b32 v84, v6, v5 offset0:4 offset1:6
	ds_store_2addr_stride64_b32 v84, v13, v10 offset0:8 offset1:10
	;; [unrolled: 1-line block ×3, first 2 shown]
	s_waitcnt lgkmcnt(0)
	s_barrier
	ds_load_b128 v[87:90], v82
	ds_load_b128 v[91:94], v83 offset:16384
	s_clause 0x1
	buffer_load_b128 v[12:15], v3, s[44:47], 0 offen
	buffer_load_b128 v[8:11], v0, s[44:47], 0 offen
	v_cmp_le_i32_e64 s3, s20, v1
	v_cmp_gt_i32_e64 s4, s19, v1
	v_add_nc_u32_e32 v1, v1, v97
	s_and_b32 s5, s7, s5
	ds_load_b128 v[95:98], v83 offset:16640
	s_and_b32 s7, s3, s4
	v_cmp_le_i32_e64 s3, s20, v1
	v_cmp_gt_i32_e64 s4, s19, v1
	s_clause 0x1
	buffer_load_b128 v[4:7], v99, s[52:55], 0 offen
	buffer_load_b128 v[0:3], v100, s[52:55], 0 offen
	s_and_b32 s6, s6, s7
	ds_load_b128 v[99:102], v82 offset:256
	s_waitcnt lgkmcnt(2)
	;;#ASMSTART
	
             v_fmac_f32 v69, v87, v91 
             
	;;#ASMEND
	s_and_b32 s3, s3, s4
	v_cmp_gt_i32_e64 s4, s16, v103
	s_and_b32 s5, s5, s3
	v_cmp_le_i32_e64 s3, s17, v103
	v_add_nc_u32_e32 v103, v103, v86
	;;#ASMSTART
	
             v_fmac_f32 v67, v87, v92 
             
	;;#ASMEND
	;;#ASMSTART
	
             v_fmac_f32 v68, v87, v93 
             
	;;#ASMEND
	;; [unrolled: 5-line block ×3, first 2 shown]
	s_and_b32 s7, s3, s4
	v_cmp_le_i32_e64 s3, s17, v103
	v_cmp_gt_i32_e64 s4, s16, v103
	s_and_b32 s6, s6, s7
	;;#ASMSTART
	
             v_fmac_f32 v57, v88, v91 
             
	;;#ASMEND
	;;#ASMSTART
	
             v_fmac_f32 v61, v88, v92 
             
	;;#ASMEND
	;;#ASMSTART
	
             v_fmac_f32 v58, v88, v93 
             
	;;#ASMEND
	s_and_b32 s4, s3, s4
	s_and_b32 s3, s2, s6
	;;#ASMSTART
	
             v_fmac_f32 v54, v88, v94 
             
	;;#ASMEND
	;;#ASMSTART
	
             v_fmac_f32 v43, v89, v91 
             
	;;#ASMEND
	;; [unrolled: 5-line block ×9, first 2 shown]
	s_waitcnt lgkmcnt(1)
	;;#ASMSTART
	
             v_fmac_f32 v79, v87, v95 
             
	;;#ASMEND
	;;#ASMSTART
	
             v_fmac_f32 v78, v87, v96 
             
	;;#ASMEND
	;; [unrolled: 5-line block ×16, first 2 shown]
	ds_load_b128 v[87:90], v82 offset:512
	s_waitcnt lgkmcnt(1)
	;;#ASMSTART
	
             v_fmac_f32 v49, v99, v91 
             
	;;#ASMEND
	;;#ASMSTART
	
             v_fmac_f32 v51, v99, v92 
             
	;;#ASMEND
	;; [unrolled: 5-line block ×16, first 2 shown]
	ds_load_b128 v[91:94], v83 offset:16896
	;;#ASMSTART
	
             v_fmac_f32 v71, v99, v95 
             
	;;#ASMEND
	;;#ASMSTART
	
             v_fmac_f32 v73, v99, v96 
             
	;;#ASMEND
	;; [unrolled: 5-line block ×16, first 2 shown]
	ds_load_b128 v[95:98], v83 offset:17152
	ds_load_b128 v[99:102], v82 offset:768
	s_waitcnt lgkmcnt(2)
	;;#ASMSTART
	
             v_fmac_f32 v69, v87, v91 
             
	;;#ASMEND
	;;#ASMSTART
	
             v_fmac_f32 v67, v87, v92 
             
	;;#ASMEND
	;; [unrolled: 5-line block ×16, first 2 shown]
	s_waitcnt lgkmcnt(1)
	;;#ASMSTART
	
             v_fmac_f32 v79, v87, v95 
             
	;;#ASMEND
	;;#ASMSTART
	
             v_fmac_f32 v78, v87, v96 
             
	;;#ASMEND
	;; [unrolled: 5-line block ×16, first 2 shown]
	ds_load_b128 v[87:90], v82 offset:1024
	s_waitcnt lgkmcnt(1)
	;;#ASMSTART
	
             v_fmac_f32 v49, v99, v91 
             
	;;#ASMEND
	;;#ASMSTART
	
             v_fmac_f32 v51, v99, v92 
             
	;;#ASMEND
	;; [unrolled: 5-line block ×16, first 2 shown]
	ds_load_b128 v[91:94], v83 offset:17408
	;;#ASMSTART
	
             v_fmac_f32 v71, v99, v95 
             
	;;#ASMEND
	;;#ASMSTART
	
             v_fmac_f32 v73, v99, v96 
             
	;;#ASMEND
	;; [unrolled: 5-line block ×16, first 2 shown]
	ds_load_b128 v[95:98], v83 offset:17664
	ds_load_b128 v[99:102], v82 offset:1280
	s_waitcnt lgkmcnt(2)
	;;#ASMSTART
	
             v_fmac_f32 v69, v87, v91 
             
	;;#ASMEND
	;;#ASMSTART
	
             v_fmac_f32 v67, v87, v92 
             
	;;#ASMEND
	;; [unrolled: 5-line block ×16, first 2 shown]
	s_waitcnt lgkmcnt(1)
	;;#ASMSTART
	
             v_fmac_f32 v79, v87, v95 
             
	;;#ASMEND
	;;#ASMSTART
	
             v_fmac_f32 v78, v87, v96 
             
	;;#ASMEND
	;; [unrolled: 5-line block ×16, first 2 shown]
	ds_load_b128 v[87:90], v82 offset:1536
	s_waitcnt lgkmcnt(1)
	;;#ASMSTART
	
             v_fmac_f32 v49, v99, v91 
             
	;;#ASMEND
	;;#ASMSTART
	
             v_fmac_f32 v51, v99, v92 
             
	;;#ASMEND
	;; [unrolled: 5-line block ×16, first 2 shown]
	ds_load_b128 v[91:94], v83 offset:17920
	;;#ASMSTART
	
             v_fmac_f32 v71, v99, v95 
             
	;;#ASMEND
	;;#ASMSTART
	
             v_fmac_f32 v73, v99, v96 
             
	;;#ASMEND
	;; [unrolled: 5-line block ×16, first 2 shown]
	ds_load_b128 v[95:98], v83 offset:18176
	ds_load_b128 v[99:102], v82 offset:1792
	s_waitcnt lgkmcnt(2)
	;;#ASMSTART
	
             v_fmac_f32 v69, v87, v91 
             
	;;#ASMEND
	;;#ASMSTART
	
             v_fmac_f32 v67, v87, v92 
             
	;;#ASMEND
	;; [unrolled: 5-line block ×16, first 2 shown]
	s_waitcnt lgkmcnt(1)
	;;#ASMSTART
	
             v_fmac_f32 v79, v87, v95 
             
	;;#ASMEND
	;;#ASMSTART
	
             v_fmac_f32 v78, v87, v96 
             
	;;#ASMEND
	;; [unrolled: 5-line block ×16, first 2 shown]
	ds_load_b128 v[87:90], v82 offset:2048
	s_waitcnt lgkmcnt(1)
	;;#ASMSTART
	
             v_fmac_f32 v49, v99, v91 
             
	;;#ASMEND
	;;#ASMSTART
	
             v_fmac_f32 v51, v99, v92 
             
	;;#ASMEND
	;; [unrolled: 5-line block ×16, first 2 shown]
	ds_load_b128 v[91:94], v83 offset:18432
	;;#ASMSTART
	
             v_fmac_f32 v71, v99, v95 
             
	;;#ASMEND
	;;#ASMSTART
	
             v_fmac_f32 v73, v99, v96 
             
	;;#ASMEND
	;;#ASMSTART
	
             v_fmac_f32 v64, v99, v97 
             
	;;#ASMEND
	;;#ASMSTART
	
             v_fmac_f32 v65, v99, v98 
             
	;;#ASMEND
	;;#ASMSTART
	
             v_fmac_f32 v55, v100, v95 
             
	;;#ASMEND
	;;#ASMSTART
	
             v_fmac_f32 v56, v100, v96 
             
	;;#ASMEND
	;;#ASMSTART
	
             v_fmac_f32 v52, v100, v97 
             
	;;#ASMEND
	;;#ASMSTART
	
             v_fmac_f32 v53, v100, v98 
             
	;;#ASMEND
	;;#ASMSTART
	
             v_fmac_f32 v44, v101, v95 
             
	;;#ASMEND
	;;#ASMSTART
	
             v_fmac_f32 v39, v101, v96 
             
	;;#ASMEND
	;;#ASMSTART
	
             v_fmac_f32 v36, v101, v97 
             
	;;#ASMEND
	;;#ASMSTART
	
             v_fmac_f32 v37, v101, v98 
             
	;;#ASMEND
	;;#ASMSTART
	
             v_fmac_f32 v22, v102, v95 
             
	;;#ASMEND
	;;#ASMSTART
	
             v_fmac_f32 v25, v102, v96 
             
	;;#ASMEND
	;;#ASMSTART
	
             v_fmac_f32 v27, v102, v97 
             
	;;#ASMEND
	;;#ASMSTART
	
             v_fmac_f32 v16, v102, v98 
             
	;;#ASMEND
	ds_load_b128 v[95:98], v83 offset:18688
	ds_load_b128 v[99:102], v82 offset:2304
	s_waitcnt lgkmcnt(2)
	;;#ASMSTART
	
             v_fmac_f32 v69, v87, v91 
             
	;;#ASMEND
	;;#ASMSTART
	
             v_fmac_f32 v67, v87, v92 
             
	;;#ASMEND
	;; [unrolled: 5-line block ×16, first 2 shown]
	s_waitcnt lgkmcnt(1)
	;;#ASMSTART
	
             v_fmac_f32 v79, v87, v95 
             
	;;#ASMEND
	s_waitcnt vmcnt(3)
	v_cndmask_b32_e64 v15, 0, v15, s3
	v_cndmask_b32_e64 v14, 0, v14, s3
	;; [unrolled: 1-line block ×4, first 2 shown]
	s_and_b32 s3, s5, s4
	;;#ASMSTART
	
             v_fmac_f32 v78, v87, v96 
             
	;;#ASMEND
	s_and_b32 s2, s2, s3
	;;#ASMSTART
	
             v_fmac_f32 v76, v87, v97 
             
	;;#ASMEND
	s_waitcnt vmcnt(2)
	v_cndmask_b32_e64 v11, 0, v11, s2
	v_cndmask_b32_e64 v10, 0, v10, s2
	;; [unrolled: 1-line block ×4, first 2 shown]
	v_cmp_gt_i32_e64 s2, s38, v85
	;;#ASMSTART
	
             v_fmac_f32 v77, v87, v98 
             
	;;#ASMEND
	;;#ASMSTART
	
             v_fmac_f32 v74, v88, v95 
             
	;;#ASMEND
	;; [unrolled: 5-line block ×13, first 2 shown]
	ds_load_b128 v[86:89], v82 offset:2560
	s_waitcnt lgkmcnt(1)
	;;#ASMSTART
	
             v_fmac_f32 v49, v99, v91 
             
	;;#ASMEND
	;;#ASMSTART
	
             v_fmac_f32 v51, v99, v92 
             
	;;#ASMEND
	;; [unrolled: 5-line block ×16, first 2 shown]
	ds_load_b128 v[90:93], v83 offset:18944
	;;#ASMSTART
	
             v_fmac_f32 v71, v99, v95 
             
	;;#ASMEND
	;;#ASMSTART
	
             v_fmac_f32 v73, v99, v96 
             
	;;#ASMEND
	;; [unrolled: 5-line block ×16, first 2 shown]
	v_add_nc_u32_e32 v102, s24, v85
	ds_load_b128 v[94:97], v83 offset:19200
	ds_load_b128 v[98:101], v82 offset:2816
	s_waitcnt lgkmcnt(2)
	;;#ASMSTART
	
             v_fmac_f32 v69, v86, v90 
             
	;;#ASMEND
	;;#ASMSTART
	
             v_fmac_f32 v67, v86, v91 
             
	;;#ASMEND
	;; [unrolled: 5-line block ×16, first 2 shown]
	s_waitcnt lgkmcnt(1)
	;;#ASMSTART
	
             v_fmac_f32 v79, v86, v94 
             
	;;#ASMEND
	;;#ASMSTART
	
             v_fmac_f32 v78, v86, v95 
             
	;;#ASMEND
	;; [unrolled: 5-line block ×16, first 2 shown]
	ds_load_b128 v[86:89], v82 offset:3072
	s_waitcnt lgkmcnt(1)
	;;#ASMSTART
	
             v_fmac_f32 v49, v98, v90 
             
	;;#ASMEND
	;;#ASMSTART
	
             v_fmac_f32 v51, v98, v91 
             
	;;#ASMEND
	;; [unrolled: 5-line block ×16, first 2 shown]
	ds_load_b128 v[90:93], v83 offset:19456
	;;#ASMSTART
	
             v_fmac_f32 v71, v98, v94 
             
	;;#ASMEND
	;;#ASMSTART
	
             v_fmac_f32 v73, v98, v95 
             
	;;#ASMEND
	;; [unrolled: 5-line block ×16, first 2 shown]
	ds_load_b128 v[94:97], v83 offset:19712
	ds_load_b128 v[98:101], v82 offset:3328
	s_and_b32 s2, s2, vcc_lo
	s_waitcnt lgkmcnt(2)
	;;#ASMSTART
	
             v_fmac_f32 v69, v86, v90 
             
	;;#ASMEND
	;;#ASMSTART
	
             v_fmac_f32 v67, v86, v91 
             
	;;#ASMEND
	;; [unrolled: 5-line block ×16, first 2 shown]
	s_waitcnt lgkmcnt(1)
	;;#ASMSTART
	
             v_fmac_f32 v79, v86, v94 
             
	;;#ASMEND
	;;#ASMSTART
	
             v_fmac_f32 v78, v86, v95 
             
	;;#ASMEND
	;;#ASMSTART
	
             v_fmac_f32 v76, v86, v96 
             
	;;#ASMEND
	;;#ASMSTART
	
             v_fmac_f32 v77, v86, v97 
             
	;;#ASMEND
	;;#ASMSTART
	
             v_fmac_f32 v74, v87, v94 
             
	;;#ASMEND
	;;#ASMSTART
	
             v_fmac_f32 v75, v87, v95 
             
	;;#ASMEND
	;;#ASMSTART
	
             v_fmac_f32 v70, v87, v96 
             
	;;#ASMEND
	;;#ASMSTART
	
             v_fmac_f32 v72, v87, v97 
             
	;;#ASMEND
	;;#ASMSTART
	
             v_fmac_f32 v62, v88, v94 
             
	;;#ASMEND
	;;#ASMSTART
	
             v_fmac_f32 v63, v88, v95 
             
	;;#ASMEND
	;;#ASMSTART
	
             v_fmac_f32 v59, v88, v96 
             
	;;#ASMEND
	;;#ASMSTART
	
             v_fmac_f32 v60, v88, v97 
             
	;;#ASMEND
	;;#ASMSTART
	
             v_fmac_f32 v50, v89, v94 
             
	;;#ASMEND
	;;#ASMSTART
	
             v_fmac_f32 v45, v89, v95 
             
	;;#ASMEND
	;;#ASMSTART
	
             v_fmac_f32 v38, v89, v96 
             
	;;#ASMEND
	;;#ASMSTART
	
             v_fmac_f32 v40, v89, v97 
             
	;;#ASMEND
	ds_load_b128 v[86:89], v82 offset:3584
	s_waitcnt lgkmcnt(1)
	;;#ASMSTART
	
             v_fmac_f32 v49, v98, v90 
             
	;;#ASMEND
	;;#ASMSTART
	
             v_fmac_f32 v51, v98, v91 
             
	;;#ASMEND
	;; [unrolled: 5-line block ×16, first 2 shown]
	ds_load_b128 v[90:93], v83 offset:19968
	;;#ASMSTART
	
             v_fmac_f32 v71, v98, v94 
             
	;;#ASMEND
	;;#ASMSTART
	
             v_fmac_f32 v73, v98, v95 
             
	;;#ASMEND
	;; [unrolled: 5-line block ×16, first 2 shown]
	ds_load_b128 v[94:97], v83 offset:20224
	ds_load_b128 v[98:101], v82 offset:3840
	s_waitcnt lgkmcnt(2)
	;;#ASMSTART
	
             v_fmac_f32 v69, v86, v90 
             
	;;#ASMEND
	;;#ASMSTART
	
             v_fmac_f32 v67, v86, v91 
             
	;;#ASMEND
	;; [unrolled: 5-line block ×16, first 2 shown]
	s_waitcnt lgkmcnt(1)
	;;#ASMSTART
	
             v_fmac_f32 v79, v86, v94 
             
	;;#ASMEND
	;;#ASMSTART
	
             v_fmac_f32 v78, v86, v95 
             
	;;#ASMEND
	;; [unrolled: 5-line block ×16, first 2 shown]
	ds_load_b128 v[86:89], v82 offset:4096
	s_waitcnt lgkmcnt(1)
	;;#ASMSTART
	
             v_fmac_f32 v49, v98, v90 
             
	;;#ASMEND
	;;#ASMSTART
	
             v_fmac_f32 v51, v98, v91 
             
	;;#ASMEND
	;; [unrolled: 5-line block ×16, first 2 shown]
	ds_load_b128 v[90:93], v83 offset:20480
	;;#ASMSTART
	
             v_fmac_f32 v71, v98, v94 
             
	;;#ASMEND
	;;#ASMSTART
	
             v_fmac_f32 v73, v98, v95 
             
	;;#ASMEND
	;; [unrolled: 5-line block ×16, first 2 shown]
	ds_load_b128 v[94:97], v83 offset:20736
	ds_load_b128 v[98:101], v82 offset:4352
	s_waitcnt vmcnt(1)
	v_cndmask_b32_e64 v7, 0, v7, s2
	v_cndmask_b32_e64 v6, 0, v6, s2
	;; [unrolled: 1-line block ×4, first 2 shown]
	v_cmp_gt_i32_e64 s2, s38, v102
	s_waitcnt lgkmcnt(2)
	;;#ASMSTART
	
             v_fmac_f32 v69, v86, v90 
             
	;;#ASMEND
	;;#ASMSTART
	
             v_fmac_f32 v67, v86, v91 
             
	;;#ASMEND
	;; [unrolled: 5-line block ×16, first 2 shown]
	s_waitcnt lgkmcnt(1)
	;;#ASMSTART
	
             v_fmac_f32 v79, v86, v94 
             
	;;#ASMEND
	;;#ASMSTART
	
             v_fmac_f32 v78, v86, v95 
             
	;;#ASMEND
	;; [unrolled: 5-line block ×16, first 2 shown]
	ds_load_b128 v[86:89], v82 offset:4608
	s_waitcnt lgkmcnt(1)
	;;#ASMSTART
	
             v_fmac_f32 v49, v98, v90 
             
	;;#ASMEND
	;;#ASMSTART
	
             v_fmac_f32 v51, v98, v91 
             
	;;#ASMEND
	;; [unrolled: 5-line block ×16, first 2 shown]
	ds_load_b128 v[90:93], v83 offset:20992
	;;#ASMSTART
	
             v_fmac_f32 v71, v98, v94 
             
	;;#ASMEND
	;;#ASMSTART
	
             v_fmac_f32 v73, v98, v95 
             
	;;#ASMEND
	;; [unrolled: 5-line block ×16, first 2 shown]
	ds_load_b128 v[94:97], v83 offset:21248
	ds_load_b128 v[98:101], v82 offset:4864
	s_waitcnt lgkmcnt(2)
	;;#ASMSTART
	
             v_fmac_f32 v69, v86, v90 
             
	;;#ASMEND
	;;#ASMSTART
	
             v_fmac_f32 v67, v86, v91 
             
	;;#ASMEND
	;; [unrolled: 5-line block ×16, first 2 shown]
	s_waitcnt lgkmcnt(1)
	;;#ASMSTART
	
             v_fmac_f32 v79, v86, v94 
             
	;;#ASMEND
	;;#ASMSTART
	
             v_fmac_f32 v78, v86, v95 
             
	;;#ASMEND
	;; [unrolled: 5-line block ×16, first 2 shown]
	ds_load_b128 v[86:89], v82 offset:5120
	s_waitcnt lgkmcnt(1)
	;;#ASMSTART
	
             v_fmac_f32 v49, v98, v90 
             
	;;#ASMEND
	;;#ASMSTART
	
             v_fmac_f32 v51, v98, v91 
             
	;;#ASMEND
	;; [unrolled: 5-line block ×16, first 2 shown]
	ds_load_b128 v[90:93], v83 offset:21504
	;;#ASMSTART
	
             v_fmac_f32 v71, v98, v94 
             
	;;#ASMEND
	;;#ASMSTART
	
             v_fmac_f32 v73, v98, v95 
             
	;;#ASMEND
	;; [unrolled: 5-line block ×16, first 2 shown]
	ds_load_b128 v[94:97], v83 offset:21760
	ds_load_b128 v[98:101], v82 offset:5376
	s_waitcnt lgkmcnt(2)
	;;#ASMSTART
	
             v_fmac_f32 v69, v86, v90 
             
	;;#ASMEND
	;;#ASMSTART
	
             v_fmac_f32 v67, v86, v91 
             
	;;#ASMEND
	;; [unrolled: 5-line block ×16, first 2 shown]
	s_waitcnt lgkmcnt(1)
	;;#ASMSTART
	
             v_fmac_f32 v79, v86, v94 
             
	;;#ASMEND
	;;#ASMSTART
	
             v_fmac_f32 v78, v86, v95 
             
	;;#ASMEND
	;; [unrolled: 5-line block ×16, first 2 shown]
	ds_load_b128 v[86:89], v82 offset:5632
	s_waitcnt lgkmcnt(1)
	;;#ASMSTART
	
             v_fmac_f32 v49, v98, v90 
             
	;;#ASMEND
	;;#ASMSTART
	
             v_fmac_f32 v51, v98, v91 
             
	;;#ASMEND
	;; [unrolled: 5-line block ×16, first 2 shown]
	ds_load_b128 v[90:93], v83 offset:22016
	;;#ASMSTART
	
             v_fmac_f32 v71, v98, v94 
             
	;;#ASMEND
	;;#ASMSTART
	
             v_fmac_f32 v73, v98, v95 
             
	;;#ASMEND
	;; [unrolled: 5-line block ×16, first 2 shown]
	ds_load_b128 v[94:97], v83 offset:22272
	ds_load_b128 v[98:101], v82 offset:5888
	s_waitcnt lgkmcnt(2)
	;;#ASMSTART
	
             v_fmac_f32 v69, v86, v90 
             
	;;#ASMEND
	;;#ASMSTART
	
             v_fmac_f32 v67, v86, v91 
             
	;;#ASMEND
	;;#ASMSTART
	
             v_fmac_f32 v68, v86, v92 
             
	;;#ASMEND
	;;#ASMSTART
	
             v_fmac_f32 v66, v86, v93 
             
	;;#ASMEND
	;;#ASMSTART
	
             v_fmac_f32 v57, v87, v90 
             
	;;#ASMEND
	;;#ASMSTART
	
             v_fmac_f32 v61, v87, v91 
             
	;;#ASMEND
	;;#ASMSTART
	
             v_fmac_f32 v58, v87, v92 
             
	;;#ASMEND
	;;#ASMSTART
	
             v_fmac_f32 v54, v87, v93 
             
	;;#ASMEND
	;;#ASMSTART
	
             v_fmac_f32 v43, v88, v90 
             
	;;#ASMEND
	;;#ASMSTART
	
             v_fmac_f32 v46, v88, v91 
             
	;;#ASMEND
	;;#ASMSTART
	
             v_fmac_f32 v47, v88, v92 
             
	;;#ASMEND
	;;#ASMSTART
	
             v_fmac_f32 v41, v88, v93 
             
	;;#ASMEND
	;;#ASMSTART
	
             v_fmac_f32 v31, v89, v90 
             
	;;#ASMEND
	;;#ASMSTART
	
             v_fmac_f32 v29, v89, v91 
             
	;;#ASMEND
	;;#ASMSTART
	
             v_fmac_f32 v30, v89, v92 
             
	;;#ASMEND
	;;#ASMSTART
	
             v_fmac_f32 v28, v89, v93 
             
	;;#ASMEND
	s_waitcnt lgkmcnt(1)
	;;#ASMSTART
	
             v_fmac_f32 v79, v86, v94 
             
	;;#ASMEND
	;;#ASMSTART
	
             v_fmac_f32 v78, v86, v95 
             
	;;#ASMEND
	;; [unrolled: 5-line block ×16, first 2 shown]
	ds_load_b128 v[86:89], v82 offset:6144
	s_waitcnt lgkmcnt(1)
	;;#ASMSTART
	
             v_fmac_f32 v49, v98, v90 
             
	;;#ASMEND
	;;#ASMSTART
	
             v_fmac_f32 v51, v98, v91 
             
	;;#ASMEND
	;; [unrolled: 5-line block ×16, first 2 shown]
	ds_load_b128 v[90:93], v83 offset:22528
	;;#ASMSTART
	
             v_fmac_f32 v71, v98, v94 
             
	;;#ASMEND
	;;#ASMSTART
	
             v_fmac_f32 v73, v98, v95 
             
	;;#ASMEND
	;; [unrolled: 5-line block ×16, first 2 shown]
	ds_load_b128 v[94:97], v83 offset:22784
	ds_load_b128 v[98:101], v82 offset:6400
	s_waitcnt lgkmcnt(2)
	;;#ASMSTART
	
             v_fmac_f32 v69, v86, v90 
             
	;;#ASMEND
	;;#ASMSTART
	
             v_fmac_f32 v67, v86, v91 
             
	;;#ASMEND
	;; [unrolled: 5-line block ×16, first 2 shown]
	s_waitcnt lgkmcnt(1)
	;;#ASMSTART
	
             v_fmac_f32 v79, v86, v94 
             
	;;#ASMEND
	;;#ASMSTART
	
             v_fmac_f32 v78, v86, v95 
             
	;;#ASMEND
	;; [unrolled: 5-line block ×16, first 2 shown]
	ds_load_b128 v[85:88], v82 offset:6656
	s_waitcnt lgkmcnt(1)
	;;#ASMSTART
	
             v_fmac_f32 v49, v98, v90 
             
	;;#ASMEND
	;;#ASMSTART
	
             v_fmac_f32 v51, v98, v91 
             
	;;#ASMEND
	;;#ASMSTART
	
             v_fmac_f32 v48, v98, v92 
             
	;;#ASMEND
	;;#ASMSTART
	
             v_fmac_f32 v42, v98, v93 
             
	;;#ASMEND
	;;#ASMSTART
	
             v_fmac_f32 v32, v99, v90 
             
	;;#ASMEND
	;;#ASMSTART
	
             v_fmac_f32 v34, v99, v91 
             
	;;#ASMEND
	;;#ASMSTART
	
             v_fmac_f32 v35, v99, v92 
             
	;;#ASMEND
	;;#ASMSTART
	
             v_fmac_f32 v33, v99, v93 
             
	;;#ASMEND
	;;#ASMSTART
	
             v_fmac_f32 v26, v100, v90 
             
	;;#ASMEND
	;;#ASMSTART
	
             v_fmac_f32 v23, v100, v91 
             
	;;#ASMEND
	;;#ASMSTART
	
             v_fmac_f32 v24, v100, v92 
             
	;;#ASMEND
	;;#ASMSTART
	
             v_fmac_f32 v21, v100, v93 
             
	;;#ASMEND
	;;#ASMSTART
	
             v_fmac_f32 v18, v101, v90 
             
	;;#ASMEND
	;;#ASMSTART
	
             v_fmac_f32 v20, v101, v91 
             
	;;#ASMEND
	;;#ASMSTART
	
             v_fmac_f32 v17, v101, v92 
             
	;;#ASMEND
	;;#ASMSTART
	
             v_fmac_f32 v19, v101, v93 
             
	;;#ASMEND
	ds_load_b128 v[89:92], v83 offset:23040
	;;#ASMSTART
	
             v_fmac_f32 v71, v98, v94 
             
	;;#ASMEND
	;;#ASMSTART
	
             v_fmac_f32 v73, v98, v95 
             
	;;#ASMEND
	;; [unrolled: 5-line block ×16, first 2 shown]
	ds_load_b128 v[93:96], v83 offset:23296
	ds_load_b128 v[97:100], v82 offset:6912
	s_and_b32 vcc_lo, s2, vcc_lo
	s_waitcnt lgkmcnt(2)
	;;#ASMSTART
	
             v_fmac_f32 v69, v85, v89 
             
	;;#ASMEND
	;;#ASMSTART
	
             v_fmac_f32 v67, v85, v90 
             
	;;#ASMEND
	;; [unrolled: 5-line block ×16, first 2 shown]
	s_waitcnt lgkmcnt(1)
	;;#ASMSTART
	
             v_fmac_f32 v79, v85, v93 
             
	;;#ASMEND
	;;#ASMSTART
	
             v_fmac_f32 v78, v85, v94 
             
	;;#ASMEND
	;; [unrolled: 5-line block ×16, first 2 shown]
	ds_load_b128 v[85:88], v82 offset:7168
	s_waitcnt lgkmcnt(1)
	;;#ASMSTART
	
             v_fmac_f32 v49, v97, v89 
             
	;;#ASMEND
	;;#ASMSTART
	
             v_fmac_f32 v51, v97, v90 
             
	;;#ASMEND
	;; [unrolled: 5-line block ×16, first 2 shown]
	ds_load_b128 v[89:92], v83 offset:23552
	;;#ASMSTART
	
             v_fmac_f32 v71, v97, v93 
             
	;;#ASMEND
	;;#ASMSTART
	
             v_fmac_f32 v73, v97, v94 
             
	;;#ASMEND
	;; [unrolled: 5-line block ×16, first 2 shown]
	ds_load_b128 v[93:96], v83 offset:23808
	ds_load_b128 v[97:100], v82 offset:7424
	s_waitcnt vmcnt(0)
	v_dual_cndmask_b32 v101, 0, v3 :: v_dual_cndmask_b32 v102, 0, v2
	s_waitcnt lgkmcnt(2)
	;;#ASMSTART
	
             v_fmac_f32 v69, v85, v89 
             
	;;#ASMEND
	;;#ASMSTART
	
             v_fmac_f32 v67, v85, v90 
             
	;;#ASMEND
	;; [unrolled: 5-line block ×16, first 2 shown]
	s_waitcnt lgkmcnt(1)
	;;#ASMSTART
	
             v_fmac_f32 v79, v85, v93 
             
	;;#ASMEND
	;;#ASMSTART
	
             v_fmac_f32 v78, v85, v94 
             
	;;#ASMEND
	;; [unrolled: 5-line block ×16, first 2 shown]
	ds_load_b128 v[85:88], v82 offset:7680
	s_waitcnt lgkmcnt(1)
	;;#ASMSTART
	
             v_fmac_f32 v49, v97, v89 
             
	;;#ASMEND
	;;#ASMSTART
	
             v_fmac_f32 v51, v97, v90 
             
	;;#ASMEND
	;; [unrolled: 5-line block ×16, first 2 shown]
	ds_load_b128 v[89:92], v83 offset:24064
	;;#ASMSTART
	
             v_fmac_f32 v71, v97, v93 
             
	;;#ASMEND
	;;#ASMSTART
	
             v_fmac_f32 v73, v97, v94 
             
	;;#ASMEND
	;; [unrolled: 5-line block ×16, first 2 shown]
	ds_load_b128 v[93:96], v83 offset:24320
	v_dual_cndmask_b32 v97, 0, v1 :: v_dual_cndmask_b32 v98, 0, v0
	ds_load_b128 v[0:3], v82 offset:7936
	s_waitcnt lgkmcnt(2)
	;;#ASMSTART
	
             v_fmac_f32 v69, v85, v89 
             
	;;#ASMEND
	;;#ASMSTART
	
             v_fmac_f32 v67, v85, v90 
             
	;;#ASMEND
	;; [unrolled: 5-line block ×16, first 2 shown]
	s_waitcnt lgkmcnt(1)
	;;#ASMSTART
	
             v_fmac_f32 v79, v85, v93 
             
	;;#ASMEND
	;;#ASMSTART
	
             v_fmac_f32 v78, v85, v94 
             
	;;#ASMEND
	;; [unrolled: 5-line block ×16, first 2 shown]
	s_waitcnt lgkmcnt(0)
	;;#ASMSTART
	
             v_fmac_f32 v49, v0, v89 
             
	;;#ASMEND
	;;#ASMSTART
	
             v_fmac_f32 v51, v0, v90 
             
	;;#ASMEND
	;; [unrolled: 5-line block ×32, first 2 shown]
	ds_store_2addr_stride64_b32 v84, v12, v13 offset0:32 offset1:34
	ds_store_2addr_stride64_b32 v84, v14, v15 offset0:36 offset1:38
	ds_store_2addr_stride64_b32 v84, v8, v9 offset0:40 offset1:42
	ds_store_2addr_stride64_b32 v84, v10, v11 offset0:44 offset1:46
	ds_store_2addr_stride64_b32 v84, v4, v5 offset0:96 offset1:98
	ds_store_2addr_stride64_b32 v84, v6, v7 offset0:100 offset1:102
	ds_store_2addr_stride64_b32 v84, v98, v97 offset0:104 offset1:106
	ds_store_2addr_stride64_b32 v84, v102, v101 offset0:108 offset1:110
	s_waitcnt lgkmcnt(0)
	s_barrier
	ds_load_b128 v[0:3], v82 offset:8192
	ds_load_b128 v[4:7], v83 offset:24576
	;; [unrolled: 1-line block ×4, first 2 shown]
	s_waitcnt lgkmcnt(2)
	;;#ASMSTART
	
             v_fmac_f32 v69, v0, v4 
             
	;;#ASMEND
	;;#ASMSTART
	
             v_fmac_f32 v67, v0, v5 
             
	;;#ASMEND
	;; [unrolled: 5-line block ×16, first 2 shown]
	s_waitcnt lgkmcnt(1)
	;;#ASMSTART
	
             v_fmac_f32 v79, v0, v8 
             
	;;#ASMEND
	;;#ASMSTART
	
             v_fmac_f32 v78, v0, v9 
             
	;;#ASMEND
	;; [unrolled: 5-line block ×16, first 2 shown]
	ds_load_b128 v[0:3], v82 offset:8704
	s_waitcnt lgkmcnt(1)
	;;#ASMSTART
	
             v_fmac_f32 v49, v12, v4 
             
	;;#ASMEND
	;;#ASMSTART
	
             v_fmac_f32 v51, v12, v5 
             
	;;#ASMEND
	;;#ASMSTART
	
             v_fmac_f32 v48, v12, v6 
             
	;;#ASMEND
	;;#ASMSTART
	
             v_fmac_f32 v42, v12, v7 
             
	;;#ASMEND
	;;#ASMSTART
	
             v_fmac_f32 v32, v13, v4 
             
	;;#ASMEND
	;;#ASMSTART
	
             v_fmac_f32 v34, v13, v5 
             
	;;#ASMEND
	;;#ASMSTART
	
             v_fmac_f32 v35, v13, v6 
             
	;;#ASMEND
	;;#ASMSTART
	
             v_fmac_f32 v33, v13, v7 
             
	;;#ASMEND
	;;#ASMSTART
	
             v_fmac_f32 v26, v14, v4 
             
	;;#ASMEND
	;;#ASMSTART
	
             v_fmac_f32 v23, v14, v5 
             
	;;#ASMEND
	;;#ASMSTART
	
             v_fmac_f32 v24, v14, v6 
             
	;;#ASMEND
	;;#ASMSTART
	
             v_fmac_f32 v21, v14, v7 
             
	;;#ASMEND
	;;#ASMSTART
	
             v_fmac_f32 v18, v15, v4 
             
	;;#ASMEND
	;;#ASMSTART
	
             v_fmac_f32 v20, v15, v5 
             
	;;#ASMEND
	;;#ASMSTART
	
             v_fmac_f32 v17, v15, v6 
             
	;;#ASMEND
	;;#ASMSTART
	
             v_fmac_f32 v19, v15, v7 
             
	;;#ASMEND
	ds_load_b128 v[4:7], v83 offset:25088
	;;#ASMSTART
	
             v_fmac_f32 v71, v12, v8 
             
	;;#ASMEND
	;;#ASMSTART
	
             v_fmac_f32 v73, v12, v9 
             
	;;#ASMEND
	;; [unrolled: 5-line block ×16, first 2 shown]
	ds_load_b128 v[8:11], v83 offset:25344
	ds_load_b128 v[12:15], v82 offset:8960
	s_waitcnt lgkmcnt(2)
	;;#ASMSTART
	
             v_fmac_f32 v69, v0, v4 
             
	;;#ASMEND
	;;#ASMSTART
	
             v_fmac_f32 v67, v0, v5 
             
	;;#ASMEND
	;; [unrolled: 5-line block ×16, first 2 shown]
	s_waitcnt lgkmcnt(1)
	;;#ASMSTART
	
             v_fmac_f32 v79, v0, v8 
             
	;;#ASMEND
	;;#ASMSTART
	
             v_fmac_f32 v78, v0, v9 
             
	;;#ASMEND
	;; [unrolled: 5-line block ×16, first 2 shown]
	ds_load_b128 v[0:3], v82 offset:9216
	s_waitcnt lgkmcnt(1)
	;;#ASMSTART
	
             v_fmac_f32 v49, v12, v4 
             
	;;#ASMEND
	;;#ASMSTART
	
             v_fmac_f32 v51, v12, v5 
             
	;;#ASMEND
	;; [unrolled: 5-line block ×16, first 2 shown]
	ds_load_b128 v[4:7], v83 offset:25600
	;;#ASMSTART
	
             v_fmac_f32 v71, v12, v8 
             
	;;#ASMEND
	;;#ASMSTART
	
             v_fmac_f32 v73, v12, v9 
             
	;;#ASMEND
	;;#ASMSTART
	
             v_fmac_f32 v64, v12, v10 
             
	;;#ASMEND
	;;#ASMSTART
	
             v_fmac_f32 v65, v12, v11 
             
	;;#ASMEND
	;;#ASMSTART
	
             v_fmac_f32 v55, v13, v8 
             
	;;#ASMEND
	;;#ASMSTART
	
             v_fmac_f32 v56, v13, v9 
             
	;;#ASMEND
	;;#ASMSTART
	
             v_fmac_f32 v52, v13, v10 
             
	;;#ASMEND
	;;#ASMSTART
	
             v_fmac_f32 v53, v13, v11 
             
	;;#ASMEND
	;;#ASMSTART
	
             v_fmac_f32 v44, v14, v8 
             
	;;#ASMEND
	;;#ASMSTART
	
             v_fmac_f32 v39, v14, v9 
             
	;;#ASMEND
	;;#ASMSTART
	
             v_fmac_f32 v36, v14, v10 
             
	;;#ASMEND
	;;#ASMSTART
	
             v_fmac_f32 v37, v14, v11 
             
	;;#ASMEND
	;;#ASMSTART
	
             v_fmac_f32 v22, v15, v8 
             
	;;#ASMEND
	;;#ASMSTART
	
             v_fmac_f32 v25, v15, v9 
             
	;;#ASMEND
	;;#ASMSTART
	
             v_fmac_f32 v27, v15, v10 
             
	;;#ASMEND
	;;#ASMSTART
	
             v_fmac_f32 v16, v15, v11 
             
	;;#ASMEND
	ds_load_b128 v[8:11], v83 offset:25856
	ds_load_b128 v[12:15], v82 offset:9472
	s_waitcnt lgkmcnt(2)
	;;#ASMSTART
	
             v_fmac_f32 v69, v0, v4 
             
	;;#ASMEND
	;;#ASMSTART
	
             v_fmac_f32 v67, v0, v5 
             
	;;#ASMEND
	;; [unrolled: 5-line block ×16, first 2 shown]
	s_waitcnt lgkmcnt(1)
	;;#ASMSTART
	
             v_fmac_f32 v79, v0, v8 
             
	;;#ASMEND
	;;#ASMSTART
	
             v_fmac_f32 v78, v0, v9 
             
	;;#ASMEND
	;; [unrolled: 5-line block ×16, first 2 shown]
	ds_load_b128 v[0:3], v82 offset:9728
	s_waitcnt lgkmcnt(1)
	;;#ASMSTART
	
             v_fmac_f32 v49, v12, v4 
             
	;;#ASMEND
	;;#ASMSTART
	
             v_fmac_f32 v51, v12, v5 
             
	;;#ASMEND
	;; [unrolled: 5-line block ×16, first 2 shown]
	ds_load_b128 v[4:7], v83 offset:26112
	;;#ASMSTART
	
             v_fmac_f32 v71, v12, v8 
             
	;;#ASMEND
	;;#ASMSTART
	
             v_fmac_f32 v73, v12, v9 
             
	;;#ASMEND
	;; [unrolled: 5-line block ×16, first 2 shown]
	ds_load_b128 v[8:11], v83 offset:26368
	ds_load_b128 v[12:15], v82 offset:9984
	s_waitcnt lgkmcnt(2)
	;;#ASMSTART
	
             v_fmac_f32 v69, v0, v4 
             
	;;#ASMEND
	;;#ASMSTART
	
             v_fmac_f32 v67, v0, v5 
             
	;;#ASMEND
	;; [unrolled: 5-line block ×16, first 2 shown]
	s_waitcnt lgkmcnt(1)
	;;#ASMSTART
	
             v_fmac_f32 v79, v0, v8 
             
	;;#ASMEND
	;;#ASMSTART
	
             v_fmac_f32 v78, v0, v9 
             
	;;#ASMEND
	;; [unrolled: 5-line block ×16, first 2 shown]
	ds_load_b128 v[0:3], v82 offset:10240
	s_waitcnt lgkmcnt(1)
	;;#ASMSTART
	
             v_fmac_f32 v49, v12, v4 
             
	;;#ASMEND
	;;#ASMSTART
	
             v_fmac_f32 v51, v12, v5 
             
	;;#ASMEND
	;;#ASMSTART
	
             v_fmac_f32 v48, v12, v6 
             
	;;#ASMEND
	;;#ASMSTART
	
             v_fmac_f32 v42, v12, v7 
             
	;;#ASMEND
	;;#ASMSTART
	
             v_fmac_f32 v32, v13, v4 
             
	;;#ASMEND
	;;#ASMSTART
	
             v_fmac_f32 v34, v13, v5 
             
	;;#ASMEND
	;;#ASMSTART
	
             v_fmac_f32 v35, v13, v6 
             
	;;#ASMEND
	;;#ASMSTART
	
             v_fmac_f32 v33, v13, v7 
             
	;;#ASMEND
	;;#ASMSTART
	
             v_fmac_f32 v26, v14, v4 
             
	;;#ASMEND
	;;#ASMSTART
	
             v_fmac_f32 v23, v14, v5 
             
	;;#ASMEND
	;;#ASMSTART
	
             v_fmac_f32 v24, v14, v6 
             
	;;#ASMEND
	;;#ASMSTART
	
             v_fmac_f32 v21, v14, v7 
             
	;;#ASMEND
	;;#ASMSTART
	
             v_fmac_f32 v18, v15, v4 
             
	;;#ASMEND
	;;#ASMSTART
	
             v_fmac_f32 v20, v15, v5 
             
	;;#ASMEND
	;;#ASMSTART
	
             v_fmac_f32 v17, v15, v6 
             
	;;#ASMEND
	;;#ASMSTART
	
             v_fmac_f32 v19, v15, v7 
             
	;;#ASMEND
	ds_load_b128 v[4:7], v83 offset:26624
	;;#ASMSTART
	
             v_fmac_f32 v71, v12, v8 
             
	;;#ASMEND
	;;#ASMSTART
	
             v_fmac_f32 v73, v12, v9 
             
	;;#ASMEND
	;; [unrolled: 5-line block ×16, first 2 shown]
	ds_load_b128 v[8:11], v83 offset:26880
	ds_load_b128 v[12:15], v82 offset:10496
	s_waitcnt lgkmcnt(2)
	;;#ASMSTART
	
             v_fmac_f32 v69, v0, v4 
             
	;;#ASMEND
	;;#ASMSTART
	
             v_fmac_f32 v67, v0, v5 
             
	;;#ASMEND
	;; [unrolled: 5-line block ×16, first 2 shown]
	s_waitcnt lgkmcnt(1)
	;;#ASMSTART
	
             v_fmac_f32 v79, v0, v8 
             
	;;#ASMEND
	;;#ASMSTART
	
             v_fmac_f32 v78, v0, v9 
             
	;;#ASMEND
	;; [unrolled: 5-line block ×16, first 2 shown]
	ds_load_b128 v[0:3], v82 offset:10752
	s_waitcnt lgkmcnt(1)
	;;#ASMSTART
	
             v_fmac_f32 v49, v12, v4 
             
	;;#ASMEND
	;;#ASMSTART
	
             v_fmac_f32 v51, v12, v5 
             
	;;#ASMEND
	;; [unrolled: 5-line block ×16, first 2 shown]
	ds_load_b128 v[4:7], v83 offset:27136
	;;#ASMSTART
	
             v_fmac_f32 v71, v12, v8 
             
	;;#ASMEND
	;;#ASMSTART
	
             v_fmac_f32 v73, v12, v9 
             
	;;#ASMEND
	;; [unrolled: 5-line block ×16, first 2 shown]
	ds_load_b128 v[8:11], v83 offset:27392
	ds_load_b128 v[12:15], v82 offset:11008
	s_waitcnt lgkmcnt(2)
	;;#ASMSTART
	
             v_fmac_f32 v69, v0, v4 
             
	;;#ASMEND
	;;#ASMSTART
	
             v_fmac_f32 v67, v0, v5 
             
	;;#ASMEND
	;; [unrolled: 5-line block ×16, first 2 shown]
	s_waitcnt lgkmcnt(1)
	;;#ASMSTART
	
             v_fmac_f32 v79, v0, v8 
             
	;;#ASMEND
	;;#ASMSTART
	
             v_fmac_f32 v78, v0, v9 
             
	;;#ASMEND
	;;#ASMSTART
	
             v_fmac_f32 v76, v0, v10 
             
	;;#ASMEND
	;;#ASMSTART
	
             v_fmac_f32 v77, v0, v11 
             
	;;#ASMEND
	;;#ASMSTART
	
             v_fmac_f32 v74, v1, v8 
             
	;;#ASMEND
	;;#ASMSTART
	
             v_fmac_f32 v75, v1, v9 
             
	;;#ASMEND
	;;#ASMSTART
	
             v_fmac_f32 v70, v1, v10 
             
	;;#ASMEND
	;;#ASMSTART
	
             v_fmac_f32 v72, v1, v11 
             
	;;#ASMEND
	;;#ASMSTART
	
             v_fmac_f32 v62, v2, v8 
             
	;;#ASMEND
	;;#ASMSTART
	
             v_fmac_f32 v63, v2, v9 
             
	;;#ASMEND
	;;#ASMSTART
	
             v_fmac_f32 v59, v2, v10 
             
	;;#ASMEND
	;;#ASMSTART
	
             v_fmac_f32 v60, v2, v11 
             
	;;#ASMEND
	;;#ASMSTART
	
             v_fmac_f32 v50, v3, v8 
             
	;;#ASMEND
	;;#ASMSTART
	
             v_fmac_f32 v45, v3, v9 
             
	;;#ASMEND
	;;#ASMSTART
	
             v_fmac_f32 v38, v3, v10 
             
	;;#ASMEND
	;;#ASMSTART
	
             v_fmac_f32 v40, v3, v11 
             
	;;#ASMEND
	ds_load_b128 v[0:3], v82 offset:11264
	s_waitcnt lgkmcnt(1)
	;;#ASMSTART
	
             v_fmac_f32 v49, v12, v4 
             
	;;#ASMEND
	;;#ASMSTART
	
             v_fmac_f32 v51, v12, v5 
             
	;;#ASMEND
	;; [unrolled: 5-line block ×16, first 2 shown]
	ds_load_b128 v[4:7], v83 offset:27648
	;;#ASMSTART
	
             v_fmac_f32 v71, v12, v8 
             
	;;#ASMEND
	;;#ASMSTART
	
             v_fmac_f32 v73, v12, v9 
             
	;;#ASMEND
	;; [unrolled: 5-line block ×16, first 2 shown]
	ds_load_b128 v[8:11], v83 offset:27904
	ds_load_b128 v[12:15], v82 offset:11520
	s_waitcnt lgkmcnt(2)
	;;#ASMSTART
	
             v_fmac_f32 v69, v0, v4 
             
	;;#ASMEND
	;;#ASMSTART
	
             v_fmac_f32 v67, v0, v5 
             
	;;#ASMEND
	;;#ASMSTART
	
             v_fmac_f32 v68, v0, v6 
             
	;;#ASMEND
	;;#ASMSTART
	
             v_fmac_f32 v66, v0, v7 
             
	;;#ASMEND
	;;#ASMSTART
	
             v_fmac_f32 v57, v1, v4 
             
	;;#ASMEND
	;;#ASMSTART
	
             v_fmac_f32 v61, v1, v5 
             
	;;#ASMEND
	;;#ASMSTART
	
             v_fmac_f32 v58, v1, v6 
             
	;;#ASMEND
	;;#ASMSTART
	
             v_fmac_f32 v54, v1, v7 
             
	;;#ASMEND
	;;#ASMSTART
	
             v_fmac_f32 v43, v2, v4 
             
	;;#ASMEND
	;;#ASMSTART
	
             v_fmac_f32 v46, v2, v5 
             
	;;#ASMEND
	;;#ASMSTART
	
             v_fmac_f32 v47, v2, v6 
             
	;;#ASMEND
	;;#ASMSTART
	
             v_fmac_f32 v41, v2, v7 
             
	;;#ASMEND
	;;#ASMSTART
	
             v_fmac_f32 v31, v3, v4 
             
	;;#ASMEND
	;;#ASMSTART
	
             v_fmac_f32 v29, v3, v5 
             
	;;#ASMEND
	;;#ASMSTART
	
             v_fmac_f32 v30, v3, v6 
             
	;;#ASMEND
	;;#ASMSTART
	
             v_fmac_f32 v28, v3, v7 
             
	;;#ASMEND
	s_waitcnt lgkmcnt(1)
	;;#ASMSTART
	
             v_fmac_f32 v79, v0, v8 
             
	;;#ASMEND
	;;#ASMSTART
	
             v_fmac_f32 v78, v0, v9 
             
	;;#ASMEND
	;; [unrolled: 5-line block ×16, first 2 shown]
	ds_load_b128 v[0:3], v82 offset:11776
	s_waitcnt lgkmcnt(1)
	;;#ASMSTART
	
             v_fmac_f32 v49, v12, v4 
             
	;;#ASMEND
	;;#ASMSTART
	
             v_fmac_f32 v51, v12, v5 
             
	;;#ASMEND
	;; [unrolled: 5-line block ×16, first 2 shown]
	ds_load_b128 v[4:7], v83 offset:28160
	;;#ASMSTART
	
             v_fmac_f32 v71, v12, v8 
             
	;;#ASMEND
	;;#ASMSTART
	
             v_fmac_f32 v73, v12, v9 
             
	;;#ASMEND
	;; [unrolled: 5-line block ×16, first 2 shown]
	ds_load_b128 v[8:11], v83 offset:28416
	ds_load_b128 v[12:15], v82 offset:12032
	s_waitcnt lgkmcnt(2)
	;;#ASMSTART
	
             v_fmac_f32 v69, v0, v4 
             
	;;#ASMEND
	;;#ASMSTART
	
             v_fmac_f32 v67, v0, v5 
             
	;;#ASMEND
	;; [unrolled: 5-line block ×16, first 2 shown]
	s_waitcnt lgkmcnt(1)
	;;#ASMSTART
	
             v_fmac_f32 v79, v0, v8 
             
	;;#ASMEND
	;;#ASMSTART
	
             v_fmac_f32 v78, v0, v9 
             
	;;#ASMEND
	;; [unrolled: 5-line block ×16, first 2 shown]
	ds_load_b128 v[0:3], v82 offset:12288
	s_waitcnt lgkmcnt(1)
	;;#ASMSTART
	
             v_fmac_f32 v49, v12, v4 
             
	;;#ASMEND
	;;#ASMSTART
	
             v_fmac_f32 v51, v12, v5 
             
	;;#ASMEND
	;; [unrolled: 5-line block ×16, first 2 shown]
	ds_load_b128 v[4:7], v83 offset:28672
	;;#ASMSTART
	
             v_fmac_f32 v71, v12, v8 
             
	;;#ASMEND
	;;#ASMSTART
	
             v_fmac_f32 v73, v12, v9 
             
	;;#ASMEND
	;; [unrolled: 5-line block ×16, first 2 shown]
	ds_load_b128 v[8:11], v83 offset:28928
	ds_load_b128 v[12:15], v82 offset:12544
	s_waitcnt lgkmcnt(2)
	;;#ASMSTART
	
             v_fmac_f32 v69, v0, v4 
             
	;;#ASMEND
	;;#ASMSTART
	
             v_fmac_f32 v67, v0, v5 
             
	;;#ASMEND
	;; [unrolled: 5-line block ×16, first 2 shown]
	s_waitcnt lgkmcnt(1)
	;;#ASMSTART
	
             v_fmac_f32 v79, v0, v8 
             
	;;#ASMEND
	;;#ASMSTART
	
             v_fmac_f32 v78, v0, v9 
             
	;;#ASMEND
	;; [unrolled: 5-line block ×16, first 2 shown]
	ds_load_b128 v[0:3], v82 offset:12800
	s_waitcnt lgkmcnt(1)
	;;#ASMSTART
	
             v_fmac_f32 v49, v12, v4 
             
	;;#ASMEND
	;;#ASMSTART
	
             v_fmac_f32 v51, v12, v5 
             
	;;#ASMEND
	;; [unrolled: 5-line block ×16, first 2 shown]
	ds_load_b128 v[4:7], v83 offset:29184
	;;#ASMSTART
	
             v_fmac_f32 v71, v12, v8 
             
	;;#ASMEND
	;;#ASMSTART
	
             v_fmac_f32 v73, v12, v9 
             
	;;#ASMEND
	;; [unrolled: 5-line block ×16, first 2 shown]
	ds_load_b128 v[8:11], v83 offset:29440
	ds_load_b128 v[12:15], v82 offset:13056
	s_waitcnt lgkmcnt(2)
	;;#ASMSTART
	
             v_fmac_f32 v69, v0, v4 
             
	;;#ASMEND
	;;#ASMSTART
	
             v_fmac_f32 v67, v0, v5 
             
	;;#ASMEND
	;; [unrolled: 5-line block ×16, first 2 shown]
	s_waitcnt lgkmcnt(1)
	;;#ASMSTART
	
             v_fmac_f32 v79, v0, v8 
             
	;;#ASMEND
	;;#ASMSTART
	
             v_fmac_f32 v78, v0, v9 
             
	;;#ASMEND
	;;#ASMSTART
	
             v_fmac_f32 v76, v0, v10 
             
	;;#ASMEND
	;;#ASMSTART
	
             v_fmac_f32 v77, v0, v11 
             
	;;#ASMEND
	;;#ASMSTART
	
             v_fmac_f32 v74, v1, v8 
             
	;;#ASMEND
	;;#ASMSTART
	
             v_fmac_f32 v75, v1, v9 
             
	;;#ASMEND
	;;#ASMSTART
	
             v_fmac_f32 v70, v1, v10 
             
	;;#ASMEND
	;;#ASMSTART
	
             v_fmac_f32 v72, v1, v11 
             
	;;#ASMEND
	;;#ASMSTART
	
             v_fmac_f32 v62, v2, v8 
             
	;;#ASMEND
	;;#ASMSTART
	
             v_fmac_f32 v63, v2, v9 
             
	;;#ASMEND
	;;#ASMSTART
	
             v_fmac_f32 v59, v2, v10 
             
	;;#ASMEND
	;;#ASMSTART
	
             v_fmac_f32 v60, v2, v11 
             
	;;#ASMEND
	;;#ASMSTART
	
             v_fmac_f32 v50, v3, v8 
             
	;;#ASMEND
	;;#ASMSTART
	
             v_fmac_f32 v45, v3, v9 
             
	;;#ASMEND
	;;#ASMSTART
	
             v_fmac_f32 v38, v3, v10 
             
	;;#ASMEND
	;;#ASMSTART
	
             v_fmac_f32 v40, v3, v11 
             
	;;#ASMEND
	ds_load_b128 v[0:3], v82 offset:13312
	s_waitcnt lgkmcnt(1)
	;;#ASMSTART
	
             v_fmac_f32 v49, v12, v4 
             
	;;#ASMEND
	;;#ASMSTART
	
             v_fmac_f32 v51, v12, v5 
             
	;;#ASMEND
	;; [unrolled: 5-line block ×16, first 2 shown]
	ds_load_b128 v[4:7], v83 offset:29696
	;;#ASMSTART
	
             v_fmac_f32 v71, v12, v8 
             
	;;#ASMEND
	;;#ASMSTART
	
             v_fmac_f32 v73, v12, v9 
             
	;;#ASMEND
	;; [unrolled: 5-line block ×16, first 2 shown]
	ds_load_b128 v[8:11], v83 offset:29952
	ds_load_b128 v[12:15], v82 offset:13568
	s_waitcnt lgkmcnt(2)
	;;#ASMSTART
	
             v_fmac_f32 v69, v0, v4 
             
	;;#ASMEND
	;;#ASMSTART
	
             v_fmac_f32 v67, v0, v5 
             
	;;#ASMEND
	;; [unrolled: 5-line block ×16, first 2 shown]
	s_waitcnt lgkmcnt(1)
	;;#ASMSTART
	
             v_fmac_f32 v79, v0, v8 
             
	;;#ASMEND
	;;#ASMSTART
	
             v_fmac_f32 v78, v0, v9 
             
	;;#ASMEND
	;; [unrolled: 5-line block ×16, first 2 shown]
	ds_load_b128 v[0:3], v82 offset:13824
	s_waitcnt lgkmcnt(1)
	;;#ASMSTART
	
             v_fmac_f32 v49, v12, v4 
             
	;;#ASMEND
	;;#ASMSTART
	
             v_fmac_f32 v51, v12, v5 
             
	;;#ASMEND
	;;#ASMSTART
	
             v_fmac_f32 v48, v12, v6 
             
	;;#ASMEND
	;;#ASMSTART
	
             v_fmac_f32 v42, v12, v7 
             
	;;#ASMEND
	;;#ASMSTART
	
             v_fmac_f32 v32, v13, v4 
             
	;;#ASMEND
	;;#ASMSTART
	
             v_fmac_f32 v34, v13, v5 
             
	;;#ASMEND
	;;#ASMSTART
	
             v_fmac_f32 v35, v13, v6 
             
	;;#ASMEND
	;;#ASMSTART
	
             v_fmac_f32 v33, v13, v7 
             
	;;#ASMEND
	;;#ASMSTART
	
             v_fmac_f32 v26, v14, v4 
             
	;;#ASMEND
	;;#ASMSTART
	
             v_fmac_f32 v23, v14, v5 
             
	;;#ASMEND
	;;#ASMSTART
	
             v_fmac_f32 v24, v14, v6 
             
	;;#ASMEND
	;;#ASMSTART
	
             v_fmac_f32 v21, v14, v7 
             
	;;#ASMEND
	;;#ASMSTART
	
             v_fmac_f32 v18, v15, v4 
             
	;;#ASMEND
	;;#ASMSTART
	
             v_fmac_f32 v20, v15, v5 
             
	;;#ASMEND
	;;#ASMSTART
	
             v_fmac_f32 v17, v15, v6 
             
	;;#ASMEND
	;;#ASMSTART
	
             v_fmac_f32 v19, v15, v7 
             
	;;#ASMEND
	ds_load_b128 v[4:7], v83 offset:30208
	;;#ASMSTART
	
             v_fmac_f32 v71, v12, v8 
             
	;;#ASMEND
	;;#ASMSTART
	
             v_fmac_f32 v73, v12, v9 
             
	;;#ASMEND
	;;#ASMSTART
	
             v_fmac_f32 v64, v12, v10 
             
	;;#ASMEND
	;;#ASMSTART
	
             v_fmac_f32 v65, v12, v11 
             
	;;#ASMEND
	;;#ASMSTART
	
             v_fmac_f32 v55, v13, v8 
             
	;;#ASMEND
	;;#ASMSTART
	
             v_fmac_f32 v56, v13, v9 
             
	;;#ASMEND
	;;#ASMSTART
	
             v_fmac_f32 v52, v13, v10 
             
	;;#ASMEND
	;;#ASMSTART
	
             v_fmac_f32 v53, v13, v11 
             
	;;#ASMEND
	;;#ASMSTART
	
             v_fmac_f32 v44, v14, v8 
             
	;;#ASMEND
	;;#ASMSTART
	
             v_fmac_f32 v39, v14, v9 
             
	;;#ASMEND
	;;#ASMSTART
	
             v_fmac_f32 v36, v14, v10 
             
	;;#ASMEND
	;;#ASMSTART
	
             v_fmac_f32 v37, v14, v11 
             
	;;#ASMEND
	;;#ASMSTART
	
             v_fmac_f32 v22, v15, v8 
             
	;;#ASMEND
	;;#ASMSTART
	
             v_fmac_f32 v25, v15, v9 
             
	;;#ASMEND
	;;#ASMSTART
	
             v_fmac_f32 v27, v15, v10 
             
	;;#ASMEND
	;;#ASMSTART
	
             v_fmac_f32 v16, v15, v11 
             
	;;#ASMEND
	ds_load_b128 v[8:11], v83 offset:30464
	ds_load_b128 v[12:15], v82 offset:14080
	s_waitcnt lgkmcnt(2)
	;;#ASMSTART
	
             v_fmac_f32 v69, v0, v4 
             
	;;#ASMEND
	;;#ASMSTART
	
             v_fmac_f32 v67, v0, v5 
             
	;;#ASMEND
	;; [unrolled: 5-line block ×16, first 2 shown]
	s_waitcnt lgkmcnt(1)
	;;#ASMSTART
	
             v_fmac_f32 v79, v0, v8 
             
	;;#ASMEND
	;;#ASMSTART
	
             v_fmac_f32 v78, v0, v9 
             
	;;#ASMEND
	;; [unrolled: 5-line block ×16, first 2 shown]
	ds_load_b128 v[0:3], v82 offset:14336
	s_waitcnt lgkmcnt(1)
	;;#ASMSTART
	
             v_fmac_f32 v49, v12, v4 
             
	;;#ASMEND
	;;#ASMSTART
	
             v_fmac_f32 v51, v12, v5 
             
	;;#ASMEND
	;; [unrolled: 5-line block ×16, first 2 shown]
	ds_load_b128 v[4:7], v83 offset:30720
	;;#ASMSTART
	
             v_fmac_f32 v71, v12, v8 
             
	;;#ASMEND
	;;#ASMSTART
	
             v_fmac_f32 v73, v12, v9 
             
	;;#ASMEND
	;; [unrolled: 5-line block ×16, first 2 shown]
	ds_load_b128 v[8:11], v83 offset:30976
	ds_load_b128 v[12:15], v82 offset:14592
	s_waitcnt lgkmcnt(2)
	;;#ASMSTART
	
             v_fmac_f32 v69, v0, v4 
             
	;;#ASMEND
	;;#ASMSTART
	
             v_fmac_f32 v67, v0, v5 
             
	;;#ASMEND
	;; [unrolled: 5-line block ×16, first 2 shown]
	s_waitcnt lgkmcnt(1)
	;;#ASMSTART
	
             v_fmac_f32 v79, v0, v8 
             
	;;#ASMEND
	;;#ASMSTART
	
             v_fmac_f32 v78, v0, v9 
             
	;;#ASMEND
	;;#ASMSTART
	
             v_fmac_f32 v76, v0, v10 
             
	;;#ASMEND
	;;#ASMSTART
	
             v_fmac_f32 v77, v0, v11 
             
	;;#ASMEND
	;;#ASMSTART
	
             v_fmac_f32 v74, v1, v8 
             
	;;#ASMEND
	;;#ASMSTART
	
             v_fmac_f32 v75, v1, v9 
             
	;;#ASMEND
	;;#ASMSTART
	
             v_fmac_f32 v70, v1, v10 
             
	;;#ASMEND
	;;#ASMSTART
	
             v_fmac_f32 v72, v1, v11 
             
	;;#ASMEND
	;;#ASMSTART
	
             v_fmac_f32 v62, v2, v8 
             
	;;#ASMEND
	;;#ASMSTART
	
             v_fmac_f32 v63, v2, v9 
             
	;;#ASMEND
	;;#ASMSTART
	
             v_fmac_f32 v59, v2, v10 
             
	;;#ASMEND
	;;#ASMSTART
	
             v_fmac_f32 v60, v2, v11 
             
	;;#ASMEND
	;;#ASMSTART
	
             v_fmac_f32 v50, v3, v8 
             
	;;#ASMEND
	;;#ASMSTART
	
             v_fmac_f32 v45, v3, v9 
             
	;;#ASMEND
	;;#ASMSTART
	
             v_fmac_f32 v38, v3, v10 
             
	;;#ASMEND
	;;#ASMSTART
	
             v_fmac_f32 v40, v3, v11 
             
	;;#ASMEND
	ds_load_b128 v[0:3], v82 offset:14848
	s_waitcnt lgkmcnt(1)
	;;#ASMSTART
	
             v_fmac_f32 v49, v12, v4 
             
	;;#ASMEND
	;;#ASMSTART
	
             v_fmac_f32 v51, v12, v5 
             
	;;#ASMEND
	;; [unrolled: 5-line block ×16, first 2 shown]
	ds_load_b128 v[4:7], v83 offset:31232
	;;#ASMSTART
	
             v_fmac_f32 v71, v12, v8 
             
	;;#ASMEND
	;;#ASMSTART
	
             v_fmac_f32 v73, v12, v9 
             
	;;#ASMEND
	;; [unrolled: 5-line block ×16, first 2 shown]
	ds_load_b128 v[8:11], v83 offset:31488
	ds_load_b128 v[12:15], v82 offset:15104
	s_waitcnt lgkmcnt(2)
	;;#ASMSTART
	
             v_fmac_f32 v69, v0, v4 
             
	;;#ASMEND
	;;#ASMSTART
	
             v_fmac_f32 v67, v0, v5 
             
	;;#ASMEND
	;; [unrolled: 5-line block ×16, first 2 shown]
	s_waitcnt lgkmcnt(1)
	;;#ASMSTART
	
             v_fmac_f32 v79, v0, v8 
             
	;;#ASMEND
	;;#ASMSTART
	
             v_fmac_f32 v78, v0, v9 
             
	;;#ASMEND
	;; [unrolled: 5-line block ×16, first 2 shown]
	ds_load_b128 v[0:3], v82 offset:15360
	s_waitcnt lgkmcnt(1)
	;;#ASMSTART
	
             v_fmac_f32 v49, v12, v4 
             
	;;#ASMEND
	;;#ASMSTART
	
             v_fmac_f32 v51, v12, v5 
             
	;;#ASMEND
	;; [unrolled: 5-line block ×16, first 2 shown]
	ds_load_b128 v[4:7], v83 offset:31744
	;;#ASMSTART
	
             v_fmac_f32 v71, v12, v8 
             
	;;#ASMEND
	;;#ASMSTART
	
             v_fmac_f32 v73, v12, v9 
             
	;;#ASMEND
	;; [unrolled: 5-line block ×16, first 2 shown]
	ds_load_b128 v[8:11], v83 offset:32000
	ds_load_b128 v[12:15], v82 offset:15616
	s_waitcnt lgkmcnt(2)
	;;#ASMSTART
	
             v_fmac_f32 v69, v0, v4 
             
	;;#ASMEND
	;;#ASMSTART
	
             v_fmac_f32 v67, v0, v5 
             
	;;#ASMEND
	;; [unrolled: 5-line block ×16, first 2 shown]
	s_waitcnt lgkmcnt(1)
	;;#ASMSTART
	
             v_fmac_f32 v79, v0, v8 
             
	;;#ASMEND
	;;#ASMSTART
	
             v_fmac_f32 v78, v0, v9 
             
	;;#ASMEND
	;; [unrolled: 5-line block ×16, first 2 shown]
	ds_load_b128 v[0:3], v82 offset:15872
	s_waitcnt lgkmcnt(1)
	;;#ASMSTART
	
             v_fmac_f32 v49, v12, v4 
             
	;;#ASMEND
	;;#ASMSTART
	
             v_fmac_f32 v51, v12, v5 
             
	;;#ASMEND
	;; [unrolled: 5-line block ×16, first 2 shown]
	ds_load_b128 v[4:7], v83 offset:32256
	;;#ASMSTART
	
             v_fmac_f32 v71, v12, v8 
             
	;;#ASMEND
	;;#ASMSTART
	
             v_fmac_f32 v73, v12, v9 
             
	;;#ASMEND
	;;#ASMSTART
	
             v_fmac_f32 v64, v12, v10 
             
	;;#ASMEND
	;;#ASMSTART
	
             v_fmac_f32 v65, v12, v11 
             
	;;#ASMEND
	;;#ASMSTART
	
             v_fmac_f32 v55, v13, v8 
             
	;;#ASMEND
	;;#ASMSTART
	
             v_fmac_f32 v56, v13, v9 
             
	;;#ASMEND
	;;#ASMSTART
	
             v_fmac_f32 v52, v13, v10 
             
	;;#ASMEND
	;;#ASMSTART
	
             v_fmac_f32 v53, v13, v11 
             
	;;#ASMEND
	;;#ASMSTART
	
             v_fmac_f32 v44, v14, v8 
             
	;;#ASMEND
	;;#ASMSTART
	
             v_fmac_f32 v39, v14, v9 
             
	;;#ASMEND
	;;#ASMSTART
	
             v_fmac_f32 v36, v14, v10 
             
	;;#ASMEND
	;;#ASMSTART
	
             v_fmac_f32 v37, v14, v11 
             
	;;#ASMEND
	;;#ASMSTART
	
             v_fmac_f32 v22, v15, v8 
             
	;;#ASMEND
	;;#ASMSTART
	
             v_fmac_f32 v25, v15, v9 
             
	;;#ASMEND
	;;#ASMSTART
	
             v_fmac_f32 v27, v15, v10 
             
	;;#ASMEND
	;;#ASMSTART
	
             v_fmac_f32 v16, v15, v11 
             
	;;#ASMEND
	ds_load_b128 v[8:11], v83 offset:32512
	s_clause 0x4
	s_load_b32 s2, s[0:1], 0x210
	s_load_b64 s[4:5], s[0:1], 0x220
	s_load_b32 s3, s[0:1], 0x22c
	s_load_b32 s7, s[0:1], 0x238
	;; [unrolled: 1-line block ×3, first 2 shown]
	ds_load_b128 v[12:15], v82 offset:16128
	s_waitcnt lgkmcnt(0)
	;;#ASMSTART
	
             v_fmac_f32 v69, v0, v4 
             
	;;#ASMEND
	;;#ASMSTART
	
             v_fmac_f32 v67, v0, v5 
             
	;;#ASMEND
	;; [unrolled: 5-line block ×20, first 2 shown]
	v_add_nc_u32_e32 v0, s33, v81
	;;#ASMSTART
	
             v_fmac_f32 v74, v1, v8 
             
	;;#ASMEND
	;;#ASMSTART
	
             v_fmac_f32 v75, v1, v9 
             
	;;#ASMEND
	;; [unrolled: 5-line block ×8, first 2 shown]
	v_mul_lo_u32 v2, v0, s30
	v_add_nc_u32_e32 v1, s15, v80
	s_lshl_b32 s42, s2, 2
	;;#ASMSTART
	
             v_fmac_f32 v50, v3, v8 
             
	;;#ASMEND
	;;#ASMSTART
	
             v_fmac_f32 v45, v3, v9 
             
	;;#ASMEND
	;; [unrolled: 5-line block ×5, first 2 shown]
	v_mad_u64_u32 v[80:81], null, v1, s31, v[2:3]
	;;#ASMSTART
	
             v_fmac_f32 v51, v12, v5 
             
	;;#ASMEND
	;;#ASMSTART
	
             v_fmac_f32 v48, v12, v6 
             
	;;#ASMEND
	;;#ASMSTART
	
             v_fmac_f32 v42, v12, v7 
             
	;;#ASMEND
	;;#ASMSTART
	
             v_fmac_f32 v32, v13, v4 
             
	;;#ASMEND
	;;#ASMSTART
	
             v_fmac_f32 v34, v13, v5 
             
	;;#ASMEND
	;;#ASMSTART
	
             v_fmac_f32 v35, v13, v6 
             
	;;#ASMEND
	s_delay_alu instid0(VALU_DEP_1)
	v_lshlrev_b32_e32 v2, 2, v80
	;;#ASMSTART
	
             v_fmac_f32 v33, v13, v7 
             
	;;#ASMEND
	;;#ASMSTART
	
             v_fmac_f32 v26, v14, v4 
             
	;;#ASMEND
	;; [unrolled: 5-line block ×25, first 2 shown]
	buffer_load_b128 v[2:5], v2, s[40:43], 0 offen
	s_lshl_b32 s2, s31, 6
	v_add_nc_u32_e32 v14, s30, v80
	v_add_lshl_u32 v6, v80, s2, 2
	s_lshl_b32 s8, s5, 6
	s_lshl_b32 s38, s6, 2
	s_delay_alu instid0(VALU_DEP_2)
	v_lshlrev_b32_e32 v10, 2, v14
	buffer_load_b128 v[6:9], v6, s[40:43], 0 offen
	v_add_lshl_u32 v15, v14, s2, 2
	v_add_nc_u32_e32 v14, s30, v14
	s_clause 0x1
	buffer_load_b128 v[10:13], v10, s[40:43], 0 offen
	buffer_load_b128 v[80:83], v15, s[40:43], 0 offen
	v_lshlrev_b32_e32 v15, 2, v14
	buffer_load_b128 v[84:87], v15, s[40:43], 0 offen
	v_add_lshl_u32 v15, v14, s2, 2
	v_add_nc_u32_e32 v14, s30, v14
	buffer_load_b128 v[88:91], v15, s[40:43], 0 offen
	v_lshlrev_b32_e32 v15, 2, v14
	buffer_load_b128 v[92:95], v15, s[40:43], 0 offen
	v_add_lshl_u32 v15, v14, s2, 2
	s_delay_alu instid0(VALU_DEP_1)
	v_mad_u64_u32 v[108:109], null, s30, 61, v[14:15]
	buffer_load_b128 v[96:99], v15, s[40:43], 0 offen
	v_lshlrev_b32_e32 v14, 2, v108
	buffer_load_b128 v[100:103], v14, s[40:43], 0 offen
	v_add_lshl_u32 v14, v108, s2, 2
	buffer_load_b128 v[104:107], v14, s[40:43], 0 offen
	v_add_nc_u32_e32 v14, s30, v108
	s_delay_alu instid0(VALU_DEP_1)
	v_lshlrev_b32_e32 v15, 2, v14
	buffer_load_b128 v[108:111], v15, s[40:43], 0 offen
	v_add_lshl_u32 v15, v14, s2, 2
	v_add_nc_u32_e32 v14, s30, v14
	buffer_load_b128 v[112:115], v15, s[40:43], 0 offen
	v_lshlrev_b32_e32 v15, 2, v14
	buffer_load_b128 v[116:119], v15, s[40:43], 0 offen
	v_add_lshl_u32 v15, v14, s2, 2
	v_add_nc_u32_e32 v14, s30, v14
	buffer_load_b128 v[120:123], v15, s[40:43], 0 offen
	v_lshlrev_b32_e32 v15, 2, v14
	v_add_lshl_u32 v14, v14, s2, 2
	s_load_b32 s2, s[0:1], 0x1e8
	v_cmp_gt_i32_e64 s0, s27, v0
	s_clause 0x1
	buffer_load_b128 v[124:127], v15, s[40:43], 0 offen
	buffer_load_b128 v[128:131], v14, s[40:43], 0 offen
	v_add_nc_u32_e32 v15, 64, v1
	s_waitcnt lgkmcnt(0)
	v_cmp_gt_i32_e32 vcc_lo, s2, v1
	s_and_b32 s1, s0, vcc_lo
	s_waitcnt vmcnt(15)
	v_cndmask_b32_e64 v5, 0, v5, s1
	v_cndmask_b32_e64 v2, 0, v2, s1
	;; [unrolled: 1-line block ×4, first 2 shown]
	v_cmp_gt_i32_e64 s1, s2, v15
	s_delay_alu instid0(VALU_DEP_4) | instskip(NEXT) | instid1(VALU_DEP_3)
	v_dual_add_f32 v5, v66, v5 :: v_dual_add_f32 v2, v69, v2
	v_dual_add_f32 v3, v67, v3 :: v_dual_add_f32 v4, v68, v4
	s_delay_alu instid0(VALU_DEP_3) | instskip(NEXT) | instid1(VALU_DEP_2)
	s_and_b32 s0, s0, s1
	v_max_f32_e32 v5, 0, v5
	s_waitcnt vmcnt(14)
	v_cndmask_b32_e64 v7, 0, v7, s0
	v_cndmask_b32_e64 v9, 0, v9, s0
	;; [unrolled: 1-line block ×4, first 2 shown]
	s_delay_alu instid0(VALU_DEP_4) | instskip(NEXT) | instid1(VALU_DEP_3)
	v_dual_max_f32 v2, 0, v2 :: v_dual_add_f32 v7, v78, v7
	v_dual_add_f32 v9, v77, v9 :: v_dual_add_f32 v6, v79, v6
	s_delay_alu instid0(VALU_DEP_3) | instskip(NEXT) | instid1(VALU_DEP_3)
	v_dual_add_f32 v8, v76, v8 :: v_dual_max_f32 v3, 0, v3
	v_max_f32_e32 v7, 0, v7
	v_or_b32_e32 v132, 1, v0
	v_max_f32_e32 v4, 0, v4
	v_max_f32_e32 v6, 0, v6
	v_dual_max_f32 v8, 0, v8 :: v_dual_max_f32 v9, 0, v9
	s_delay_alu instid0(VALU_DEP_4) | instskip(NEXT) | instid1(VALU_DEP_1)
	v_cmp_gt_i32_e64 s2, s27, v132
	s_and_b32 s0, s2, vcc_lo
	s_waitcnt vmcnt(13)
	v_cndmask_b32_e64 v10, 0, v10, s0
	v_cndmask_b32_e64 v12, 0, v12, s0
	;; [unrolled: 1-line block ×4, first 2 shown]
	s_and_b32 s0, s2, s1
	v_add_f32_e32 v10, v57, v10
	s_waitcnt vmcnt(12)
	v_cndmask_b32_e64 v14, 0, v83, s0
	v_or_b32_e32 v83, 2, v0
	v_add_f32_e32 v12, v58, v12
	v_cndmask_b32_e64 v57, 0, v80, s0
	v_cndmask_b32_e64 v58, 0, v81, s0
	v_add_f32_e32 v14, v72, v14
	v_cmp_gt_i32_e64 s2, s27, v83
	v_add_f32_e32 v13, v54, v13
	s_delay_alu instid0(VALU_DEP_4)
	v_dual_add_f32 v54, v74, v57 :: v_dual_add_f32 v57, v75, v58
	v_add_nc_u32_e32 v72, 64, v0
	v_cndmask_b32_e64 v58, 0, v82, s0
	s_and_b32 s0, s2, vcc_lo
	v_add_f32_e32 v11, v61, v11
	v_max_f32_e32 v67, 0, v57
	s_waitcnt vmcnt(11)
	v_cndmask_b32_e64 v57, 0, v84, s0
	v_cndmask_b32_e64 v61, 0, v85, s0
	v_max_f32_e32 v66, 0, v54
	v_cndmask_b32_e64 v54, 0, v87, s0
	v_cndmask_b32_e64 v68, 0, v86, s0
	v_dual_add_f32 v58, v70, v58 :: v_dual_add_f32 v43, v43, v57
	v_add_f32_e32 v46, v46, v61
	v_or_b32_e32 v70, 3, v0
	s_and_b32 s0, s2, s1
	s_delay_alu instid0(VALU_DEP_3)
	v_dual_add_f32 v47, v47, v68 :: v_dual_max_f32 v68, 0, v58
	v_dual_max_f32 v69, 0, v14 :: v_dual_max_f32 v74, 0, v43
	v_max_f32_e32 v75, 0, v46
	v_add_f32_e32 v14, v41, v54
	s_waitcnt vmcnt(10)
	v_cndmask_b32_e64 v43, 0, v88, s0
	v_cndmask_b32_e64 v46, 0, v89, s0
	v_cmp_gt_i32_e64 s2, s27, v70
	v_cndmask_b32_e64 v41, 0, v91, s0
	v_max_f32_e32 v77, 0, v14
	v_cndmask_b32_e64 v14, 0, v90, s0
	v_dual_add_f32 v43, v62, v43 :: v_dual_add_f32 v46, v63, v46
	s_and_b32 s0, s2, vcc_lo
	v_max_f32_e32 v76, 0, v47
	s_delay_alu instid0(VALU_DEP_3) | instskip(NEXT) | instid1(VALU_DEP_3)
	v_dual_add_f32 v14, v59, v14 :: v_dual_add_f32 v41, v60, v41
	v_dual_max_f32 v57, 0, v43 :: v_dual_max_f32 v58, 0, v46
	s_waitcnt vmcnt(9)
	v_cndmask_b32_e64 v43, 0, v93, s0
	v_cndmask_b32_e64 v46, 0, v94, s0
	;; [unrolled: 1-line block ×4, first 2 shown]
	s_delay_alu instid0(VALU_DEP_4) | instskip(NEXT) | instid1(VALU_DEP_4)
	v_dual_max_f32 v59, 0, v14 :: v_dual_add_f32 v14, v29, v43
	v_add_f32_e32 v29, v30, v46
	s_and_b32 s0, s2, s1
	s_delay_alu instid0(VALU_DEP_3)
	v_add_f32_e32 v31, v31, v54
	v_cmp_gt_i32_e64 s2, s27, v72
	v_dual_max_f32 v79, 0, v14 :: v_dual_add_nc_u32 v82, 0x41, v0
	v_add_f32_e32 v14, v28, v47
	v_max_f32_e32 v80, 0, v29
	s_waitcnt vmcnt(8)
	v_cndmask_b32_e64 v29, 0, v97, s0
	v_max_f32_e32 v78, 0, v31
	v_cndmask_b32_e64 v30, 0, v99, s0
	v_cndmask_b32_e64 v31, 0, v96, s0
	v_max_f32_e32 v81, 0, v14
	v_cndmask_b32_e64 v14, 0, v98, s0
	v_add_f32_e32 v29, v45, v29
	s_and_b32 s0, s2, vcc_lo
	v_max_f32_e32 v60, 0, v41
	v_add_f32_e32 v28, v50, v31
	v_add_f32_e32 v14, v38, v14
	s_waitcnt vmcnt(7)
	v_cndmask_b32_e64 v43, 0, v103, s0
	v_cndmask_b32_e64 v31, 0, v100, s0
	;; [unrolled: 1-line block ×3, first 2 shown]
	v_dual_max_f32 v29, 0, v29 :: v_dual_add_f32 v38, v40, v30
	v_cndmask_b32_e64 v45, 0, v102, s0
	s_and_b32 s0, s2, s1
	v_cmp_gt_i32_e64 s2, s27, v82
	v_dual_add_f32 v40, v49, v31 :: v_dual_add_f32 v41, v51, v41
	v_max_f32_e32 v30, 0, v14
	v_dual_max_f32 v31, 0, v38 :: v_dual_add_f32 v14, v48, v45
	s_waitcnt vmcnt(6)
	v_cndmask_b32_e64 v38, 0, v107, s0
	v_cndmask_b32_e64 v45, 0, v104, s0
	;; [unrolled: 1-line block ×4, first 2 shown]
	s_and_b32 s0, s2, vcc_lo
	v_max_f32_e32 v41, 0, v41
	s_waitcnt vmcnt(5)
	v_cndmask_b32_e64 v48, 0, v108, s0
	v_dual_add_f32 v43, v42, v43 :: v_dual_add_f32 v46, v73, v46
	v_max_f32_e32 v42, 0, v14
	v_add_f32_e32 v14, v71, v45
	v_cndmask_b32_e64 v49, 0, v109, s0
	v_add_f32_e32 v32, v32, v48
	v_cndmask_b32_e64 v50, 0, v110, s0
	v_dual_add_f32 v47, v64, v47 :: v_dual_add_f32 v38, v65, v38
	s_delay_alu instid0(VALU_DEP_4)
	v_dual_max_f32 v45, 0, v14 :: v_dual_add_f32 v34, v34, v49
	v_cndmask_b32_e64 v14, 0, v111, s0
	s_and_b32 s0, s2, s1
	v_max_f32_e32 v61, 0, v32
	s_waitcnt vmcnt(4)
	v_cndmask_b32_e64 v32, 0, v112, s0
	v_max_f32_e32 v62, 0, v34
	v_dual_add_f32 v14, v33, v14 :: v_dual_add_nc_u32 v65, 0x42, v0
	v_cndmask_b32_e64 v33, 0, v113, s0
	s_delay_alu instid0(VALU_DEP_4) | instskip(SKIP_1) | instid1(VALU_DEP_4)
	v_add_f32_e32 v32, v55, v32
	v_add_f32_e32 v35, v35, v50
	v_max_f32_e32 v64, 0, v14
	v_cmp_gt_i32_e64 s2, s27, v65
	v_cndmask_b32_e64 v14, 0, v114, s0
	s_delay_alu instid0(VALU_DEP_4)
	v_dual_max_f32 v32, 0, v32 :: v_dual_max_f32 v63, 0, v35
	v_add_f32_e32 v33, v56, v33
	v_cndmask_b32_e64 v34, 0, v115, s0
	s_and_b32 s0, s2, vcc_lo
	v_add_f32_e32 v14, v52, v14
	s_waitcnt vmcnt(3)
	v_cndmask_b32_e64 v50, 0, v117, s0
	v_max_f32_e32 v33, 0, v33
	v_cndmask_b32_e64 v35, 0, v116, s0
	v_add_f32_e32 v49, v53, v34
	v_cndmask_b32_e64 v51, 0, v118, s0
	v_max_f32_e32 v34, 0, v14
	v_dual_add_f32 v14, v23, v50 :: v_dual_add_nc_u32 v71, 0x43, v0
	v_dual_max_f32 v47, 0, v47 :: v_dual_max_f32 v48, 0, v38
	s_delay_alu instid0(VALU_DEP_2) | instskip(SKIP_4) | instid1(VALU_DEP_3)
	v_dual_add_f32 v23, v24, v51 :: v_dual_max_f32 v50, 0, v14
	v_cndmask_b32_e64 v38, 0, v119, s0
	v_add_f32_e32 v26, v26, v35
	s_and_b32 s0, s2, s1
	v_cmp_gt_i32_e64 s2, s27, v71
	v_dual_max_f32 v35, 0, v49 :: v_dual_add_f32 v14, v21, v38
	v_max_f32_e32 v51, 0, v23
	s_waitcnt vmcnt(2)
	v_cndmask_b32_e64 v23, 0, v121, s0
	s_and_b32 vcc_lo, s2, vcc_lo
	v_max_f32_e32 v49, 0, v26
	v_cndmask_b32_e64 v26, 0, v120, s0
	s_waitcnt vmcnt(1)
	v_cndmask_b32_e32 v38, 0, v125, vcc_lo
	v_cndmask_b32_e64 v24, 0, v123, s0
	v_dual_max_f32 v10, 0, v10 :: v_dual_max_f32 v11, 0, v11
	v_add_f32_e32 v21, v44, v26
	v_max_f32_e32 v52, 0, v14
	v_cndmask_b32_e64 v14, 0, v122, s0
	v_cndmask_b32_e32 v26, 0, v124, vcc_lo
	v_cmp_gt_i32_e64 s0, s3, v0
	v_max_f32_e32 v53, 0, v21
	s_delay_alu instid0(VALU_DEP_4) | instskip(NEXT) | instid1(VALU_DEP_4)
	v_dual_add_f32 v21, v39, v23 :: v_dual_add_f32 v14, v36, v14
	v_dual_cndmask_b32 v23, 0, v127 :: v_dual_add_f32 v18, v18, v26
	v_max_f32_e32 v12, 0, v12
	s_delay_alu instid0(VALU_DEP_3)
	v_dual_max_f32 v54, 0, v21 :: v_dual_add_f32 v21, v37, v24
	v_cndmask_b32_e32 v24, 0, v126, vcc_lo
	v_max_f32_e32 v55, 0, v14
	v_mul_lo_u32 v14, v0, s4
	v_add_f32_e32 v20, v20, v38
	s_and_b32 vcc_lo, s2, s1
	v_dual_add_f32 v17, v17, v24 :: v_dual_max_f32 v56, 0, v21
	v_max_f32_e32 v36, 0, v18
	s_waitcnt vmcnt(0)
	v_dual_add_f32 v18, v19, v23 :: v_dual_cndmask_b32 v21, 0, v128
	v_dual_max_f32 v37, 0, v20 :: v_dual_cndmask_b32 v20, 0, v131
	v_cndmask_b32_e32 v23, 0, v130, vcc_lo
	v_cndmask_b32_e32 v19, 0, v129, vcc_lo
	s_delay_alu instid0(VALU_DEP_4) | instskip(SKIP_2) | instid1(VALU_DEP_4)
	v_dual_max_f32 v38, 0, v17 :: v_dual_max_f32 v39, 0, v18
	v_add_f32_e32 v17, v22, v21
	v_mad_u64_u32 v[21:22], null, v1, s5, v[14:15]
	v_add_f32_e32 v18, v25, v19
	v_add_f32_e32 v19, v27, v23
	v_cmp_gt_i32_e32 vcc_lo, s7, v1
	v_cmp_gt_i32_e64 s1, s7, v15
	v_cmp_gt_i32_e64 s2, s3, v132
	s_delay_alu instid0(VALU_DEP_4)
	v_dual_max_f32 v18, 0, v18 :: v_dual_max_f32 v19, 0, v19
	v_add_nc_u32_e32 v0, s8, v21
	s_and_b32 s7, s0, vcc_lo
	s_and_b32 s0, s0, s1
	v_cndmask_b32_e64 v1, 0x80000000, 0, s7
	v_cndmask_b32_e64 v14, 0x80000000, 0, s0
	s_and_b32 s0, s2, s1
	v_add_nc_u32_e32 v15, s4, v0
	v_cndmask_b32_e64 v22, 0x80000000, 0, s0
	v_lshl_add_u32 v1, v21, 2, v1
	v_lshl_add_u32 v0, v0, 2, v14
	v_cmp_gt_i32_e64 s0, s3, v83
	s_and_b32 s2, s2, vcc_lo
	v_lshl_add_u32 v14, v15, 2, v22
	v_dual_max_f32 v17, 0, v17 :: v_dual_add_f32 v16, v16, v20
	s_clause 0x2
	buffer_store_b128 v[2:5], v1, s[36:39], 0 offen
	buffer_store_b128 v[6:9], v0, s[36:39], 0 offen
	;; [unrolled: 1-line block ×3, first 2 shown]
	v_add_nc_u32_e32 v2, s4, v15
	v_add_nc_u32_e32 v0, s4, v21
	v_cndmask_b32_e64 v1, 0x80000000, 0, s2
	v_cmp_gt_i32_e64 s2, s3, v70
	s_and_b32 s6, s0, vcc_lo
	s_and_b32 s0, s0, s1
	v_dual_max_f32 v20, 0, v16 :: v_dual_add_nc_u32 v5, s4, v2
	v_add_nc_u32_e32 v3, s4, v0
	v_cndmask_b32_e64 v4, 0x80000000, 0, s6
	v_cndmask_b32_e64 v6, 0x80000000, 0, s0
	s_and_b32 s0, s2, s1
	v_max_f32_e32 v13, 0, v13
	v_cndmask_b32_e64 v7, 0x80000000, 0, s0
	v_subrev_nc_u32_e32 v8, s8, v5
	v_lshl_add_u32 v0, v0, 2, v1
	v_lshl_add_u32 v1, v3, 2, v4
	s_and_b32 s0, s2, vcc_lo
	v_lshl_add_u32 v2, v2, 2, v6
	v_max_f32_e32 v28, 0, v28
	v_lshl_add_u32 v3, v5, 2, v7
	v_cndmask_b32_e64 v5, 0x80000000, 0, s0
	v_cmp_gt_i32_e64 s0, s3, v71
	s_add_i32 s2, s5, s4
	v_lshlrev_b32_e32 v4, 2, v8
	s_clause 0x3
	buffer_store_b128 v[10:13], v0, s[36:39], 0 offen
	buffer_store_b128 v[74:77], v1, s[36:39], 0 offen
	;; [unrolled: 1-line block ×4, first 2 shown]
	v_lshl_add_u32 v1, s2, 6, v8
	v_cmp_ge_i32_e64 s2, s3, v71
	s_and_b32 s7, s0, vcc_lo
	s_and_b32 s0, s0, s1
	v_add_nc_u32_e32 v0, v4, v5
	v_cndmask_b32_e64 v2, 0x80000000, 0, s7
	v_cndmask_b32_e64 v3, 0x80000000, 0, s0
	v_subrev_nc_u32_e32 v5, s4, v1
	s_and_b32 s0, s2, s1
	s_lshl_b32 s6, s4, 8
	v_cndmask_b32_e64 v6, 0x80000000, 0, s0
	v_cmp_gt_i32_e64 s0, s3, v65
	v_add3_u32 v2, v2, s6, v4
	buffer_store_b128 v[78:81], v0, s[36:39], 0 offen
	v_lshl_add_u32 v0, v1, 2, v3
	v_subrev_nc_u32_e32 v1, s8, v5
	v_cmp_ge_i32_e64 s2, s3, v65
	s_and_b32 s0, s0, vcc_lo
	v_lshl_add_u32 v3, v5, 2, v6
	s_clause 0x1
	buffer_store_b128 v[36:39], v2, s[36:39], 0 offen
	buffer_store_b128 v[17:20], v0, s[36:39], 0 offen
	v_subrev_nc_u32_e32 v0, s4, v1
	v_cndmask_b32_e64 v2, 0x80000000, 0, s0
	v_cmp_gt_i32_e64 s0, s3, v82
	s_and_b32 s2, s2, vcc_lo
	buffer_store_b128 v[53:56], v3, s[36:39], 0 offen
	v_cndmask_b32_e64 v4, 0x80000000, 0, s2
	v_cmp_gt_i32_e64 s2, s3, v72
	v_add_nc_u32_e32 v3, s8, v0
	s_and_b32 s0, s0, s1
	v_lshl_add_u32 v1, v1, 2, v2
	v_cndmask_b32_e64 v6, 0x80000000, 0, s0
	v_cmp_ge_i32_e64 s0, s3, v82
	s_and_b32 s2, s2, vcc_lo
	v_subrev_nc_u32_e32 v5, s4, v3
	v_cndmask_b32_e64 v7, 0x80000000, 0, s2
	s_lshl_b32 s2, s5, 8
	s_and_b32 s0, s0, s1
	v_lshl_add_u32 v0, v0, 2, v4
	v_lshlrev_b32_e32 v5, 2, v5
	v_cndmask_b32_e64 v8, 0x80000000, 0, s0
	v_subrev_nc_u32_e32 v7, s2, v7
	v_lshl_add_u32 v2, v3, 2, v6
	v_dual_max_f32 v43, 0, v43 :: v_dual_max_f32 v46, 0, v46
	s_delay_alu instid0(VALU_DEP_4)
	v_add_nc_u32_e32 v3, v5, v8
	v_max_f32_e32 v40, 0, v40
	v_add_nc_u32_e32 v4, v7, v5
	s_clause 0x4
	buffer_store_b128 v[49:52], v1, s[36:39], 0 offen
	buffer_store_b128 v[61:64], v0, s[36:39], 0 offen
	;; [unrolled: 1-line block ×5, first 2 shown]
	s_nop 0
	s_sendmsg sendmsg(MSG_DEALLOC_VGPRS)
	s_endpgm
	.section	.rodata,"a",@progbits
	.p2align	6, 0x0
	.amdhsa_kernel _ZN2ck16tensor_operation6device12_GLOBAL__N_137kernel_grouped_conv_fwd_dl_multiple_dINS_32GridwiseGemmDlMultipleD_km_kn_mnILi256EffNS_5TupleIJfEEEfNS0_12element_wise11PassThroughES8_NS7_7AddReluELNS_25InMemoryDataOperationEnumE0ENS_16TensorDescriptorINS5_IJNS_5EmbedINS5_IJiiiiiEEESD_Lb0EEENS_11PassThroughIiEENS_3PadIiiiLb0EEESI_SI_SG_SG_NSC_INS5_IJiiEEESJ_Lb0EEESK_SK_SG_NS_23Merge_v2_magic_divisionINS5_IJiiiiEEEEESN_NS_8RightPadIiiLb0EEESP_NS_7UnMergeISJ_Lb0EEESG_EEENS5_IJNS_8SequenceIJLi0EEEENST_IJLi1EEEENST_IJLi2EEEENST_IJLi3EEEENST_IJLi4EEEENST_IJLi5EEEENST_IJLi6EEEENST_IJLi7EEEENST_IJLi8EEEENST_IJLi9EEEENST_IJLi10EEEENST_IJLi11ELi13ELi15ELi17EEEENST_IJLi12ELi14ELi16ELi18EEEENST_IJLi19EEEENST_IJLi20EEEENST_IJLi22EEEENST_IJLi21EEEEEEENS5_IJNST_IJLi1ELi2ELi3ELi4ELi5EEEES10_S11_S12_S13_S14_NST_IJLi11EEEENST_IJLi12ELi13EEEENST_IJLi14ELi15EEEENST_IJLi16ELi17EEEENST_IJLi18EEEES17_S18_S1A_S19_NST_IJLi23ELi24EEEENST_IJLi25EEEEEEENST_IJLi23ELi25ELi24EEEElEENSB_INS5_IJSR_SP_SP_SR_SG_EEENS5_IJSU_SV_SW_SY_SX_EEENS5_IJNST_IJLi1ELi2EEEESX_SY_NST_IJLi5ELi6EEEES11_EEENST_IJLi5ELi7ELi6EEEElEENSB_INS5_IJSK_SP_SP_EEENS5_IJSU_SV_SW_EEENS5_IJS1P_SX_SY_EEENST_IJLi3ELi4EEEElEELi128ELi128ELi16ELi1ELi4ELi4ELi1ENST_IJLi8ELi2EEEES1Z_NST_IJLi8ELi1ELi1ELi1EEEENST_IJLi2ELi1ELi128ELi1EEEENST_IJLi1ELi2ELi0ELi3EEEES22_NST_IJLi4ELi1ELi1ELi1EEEES22_NST_IJLi1ELi1ELi1ELi1EEEES20_S21_S22_S22_S23_S22_S24_NST_IJLi0ELi1ELi2ELi3ELi4ELi5EEEELi5ELi4EEEfNS5_IJPKfEEEfS8_S8_S9_NSB_INS5_IJSE_SG_SI_SI_SI_SG_SG_SK_SK_SK_SG_SN_SN_SP_SP_SR_SG_SG_NSQ_INS5_IJiNS_17integral_constantIiLi128EEEEEELb0EEENSF_INS2A_IiLi1EEEEEEEENS5_IJSU_SV_SW_SX_SY_SZ_S10_S11_S12_S13_S14_S15_S16_S17_S18_S19_S1A_NST_IJLi23EEEES1J_NST_IJLi24EEEEEEENS5_IJS1C_S10_S11_S12_S13_S14_S1D_S1E_S1F_S1G_S1H_S17_S18_S1A_S19_S1I_S1J_NST_IJLi26EEEENST_IJLi27ELi28EEEENST_IJLi29EEEEEEENST_IJLi26ELi27ELi28ELi29EEEElEENSB_INS5_IJSR_SP_SP_SR_SG_SG_S2D_S2F_EEENS5_IJSU_SV_SW_SY_SX_SZ_S11_S10_EEENS5_IJS1P_SX_SY_S1Q_S11_S12_NST_IJLi9ELi10EEEES1D_EEENST_IJLi8ELi9ELi10ELi11EEEElEENS5_IJNSB_INS5_IJSK_SP_SP_NSQ_INS5_IJiNS2A_IiLi2EEENS2A_IiLi64EEEEEELb0EEES2Z_EEENS5_IJSU_SV_SW_SX_SY_EEENS5_IJS1P_SX_SY_NST_IJLi5ELi6ELi7EEEENST_IJLi8ELi9ELi10EEEEEEENST_IJLi5ELi6ELi7ELi8ELi9ELi10EEEElEEEEES36_NS_31BlockToCTileMap_M00_N00_M01_N01ILi128ELi128ES1Y_Lb0EEENS1_30ComputePtrOffsetOfStridedBatchILi1ELi1ELi1EvEELb0ELb1EEEvPKT0_S3E_T1_PT2_T3_T4_T5_iT6_T7_T8_T9_T10_T11_
		.amdhsa_group_segment_fixed_size 32768
		.amdhsa_private_segment_fixed_size 0
		.amdhsa_kernarg_size 1024
		.amdhsa_user_sgpr_count 15
		.amdhsa_user_sgpr_dispatch_ptr 0
		.amdhsa_user_sgpr_queue_ptr 0
		.amdhsa_user_sgpr_kernarg_segment_ptr 1
		.amdhsa_user_sgpr_dispatch_id 0
		.amdhsa_user_sgpr_private_segment_size 0
		.amdhsa_wavefront_size32 1
		.amdhsa_uses_dynamic_stack 0
		.amdhsa_enable_private_segment 0
		.amdhsa_system_sgpr_workgroup_id_x 1
		.amdhsa_system_sgpr_workgroup_id_y 0
		.amdhsa_system_sgpr_workgroup_id_z 0
		.amdhsa_system_sgpr_workgroup_info 0
		.amdhsa_system_vgpr_workitem_id 0
		.amdhsa_next_free_vgpr 133
		.amdhsa_next_free_sgpr 76
		.amdhsa_reserve_vcc 1
		.amdhsa_float_round_mode_32 0
		.amdhsa_float_round_mode_16_64 0
		.amdhsa_float_denorm_mode_32 3
		.amdhsa_float_denorm_mode_16_64 3
		.amdhsa_dx10_clamp 1
		.amdhsa_ieee_mode 1
		.amdhsa_fp16_overflow 0
		.amdhsa_workgroup_processor_mode 1
		.amdhsa_memory_ordered 1
		.amdhsa_forward_progress 0
		.amdhsa_shared_vgpr_count 0
		.amdhsa_exception_fp_ieee_invalid_op 0
		.amdhsa_exception_fp_denorm_src 0
		.amdhsa_exception_fp_ieee_div_zero 0
		.amdhsa_exception_fp_ieee_overflow 0
		.amdhsa_exception_fp_ieee_underflow 0
		.amdhsa_exception_fp_ieee_inexact 0
		.amdhsa_exception_int_div_zero 0
	.end_amdhsa_kernel
	.section	.text._ZN2ck16tensor_operation6device12_GLOBAL__N_137kernel_grouped_conv_fwd_dl_multiple_dINS_32GridwiseGemmDlMultipleD_km_kn_mnILi256EffNS_5TupleIJfEEEfNS0_12element_wise11PassThroughES8_NS7_7AddReluELNS_25InMemoryDataOperationEnumE0ENS_16TensorDescriptorINS5_IJNS_5EmbedINS5_IJiiiiiEEESD_Lb0EEENS_11PassThroughIiEENS_3PadIiiiLb0EEESI_SI_SG_SG_NSC_INS5_IJiiEEESJ_Lb0EEESK_SK_SG_NS_23Merge_v2_magic_divisionINS5_IJiiiiEEEEESN_NS_8RightPadIiiLb0EEESP_NS_7UnMergeISJ_Lb0EEESG_EEENS5_IJNS_8SequenceIJLi0EEEENST_IJLi1EEEENST_IJLi2EEEENST_IJLi3EEEENST_IJLi4EEEENST_IJLi5EEEENST_IJLi6EEEENST_IJLi7EEEENST_IJLi8EEEENST_IJLi9EEEENST_IJLi10EEEENST_IJLi11ELi13ELi15ELi17EEEENST_IJLi12ELi14ELi16ELi18EEEENST_IJLi19EEEENST_IJLi20EEEENST_IJLi22EEEENST_IJLi21EEEEEEENS5_IJNST_IJLi1ELi2ELi3ELi4ELi5EEEES10_S11_S12_S13_S14_NST_IJLi11EEEENST_IJLi12ELi13EEEENST_IJLi14ELi15EEEENST_IJLi16ELi17EEEENST_IJLi18EEEES17_S18_S1A_S19_NST_IJLi23ELi24EEEENST_IJLi25EEEEEEENST_IJLi23ELi25ELi24EEEElEENSB_INS5_IJSR_SP_SP_SR_SG_EEENS5_IJSU_SV_SW_SY_SX_EEENS5_IJNST_IJLi1ELi2EEEESX_SY_NST_IJLi5ELi6EEEES11_EEENST_IJLi5ELi7ELi6EEEElEENSB_INS5_IJSK_SP_SP_EEENS5_IJSU_SV_SW_EEENS5_IJS1P_SX_SY_EEENST_IJLi3ELi4EEEElEELi128ELi128ELi16ELi1ELi4ELi4ELi1ENST_IJLi8ELi2EEEES1Z_NST_IJLi8ELi1ELi1ELi1EEEENST_IJLi2ELi1ELi128ELi1EEEENST_IJLi1ELi2ELi0ELi3EEEES22_NST_IJLi4ELi1ELi1ELi1EEEES22_NST_IJLi1ELi1ELi1ELi1EEEES20_S21_S22_S22_S23_S22_S24_NST_IJLi0ELi1ELi2ELi3ELi4ELi5EEEELi5ELi4EEEfNS5_IJPKfEEEfS8_S8_S9_NSB_INS5_IJSE_SG_SI_SI_SI_SG_SG_SK_SK_SK_SG_SN_SN_SP_SP_SR_SG_SG_NSQ_INS5_IJiNS_17integral_constantIiLi128EEEEEELb0EEENSF_INS2A_IiLi1EEEEEEEENS5_IJSU_SV_SW_SX_SY_SZ_S10_S11_S12_S13_S14_S15_S16_S17_S18_S19_S1A_NST_IJLi23EEEES1J_NST_IJLi24EEEEEEENS5_IJS1C_S10_S11_S12_S13_S14_S1D_S1E_S1F_S1G_S1H_S17_S18_S1A_S19_S1I_S1J_NST_IJLi26EEEENST_IJLi27ELi28EEEENST_IJLi29EEEEEEENST_IJLi26ELi27ELi28ELi29EEEElEENSB_INS5_IJSR_SP_SP_SR_SG_SG_S2D_S2F_EEENS5_IJSU_SV_SW_SY_SX_SZ_S11_S10_EEENS5_IJS1P_SX_SY_S1Q_S11_S12_NST_IJLi9ELi10EEEES1D_EEENST_IJLi8ELi9ELi10ELi11EEEElEENS5_IJNSB_INS5_IJSK_SP_SP_NSQ_INS5_IJiNS2A_IiLi2EEENS2A_IiLi64EEEEEELb0EEES2Z_EEENS5_IJSU_SV_SW_SX_SY_EEENS5_IJS1P_SX_SY_NST_IJLi5ELi6ELi7EEEENST_IJLi8ELi9ELi10EEEEEEENST_IJLi5ELi6ELi7ELi8ELi9ELi10EEEElEEEEES36_NS_31BlockToCTileMap_M00_N00_M01_N01ILi128ELi128ES1Y_Lb0EEENS1_30ComputePtrOffsetOfStridedBatchILi1ELi1ELi1EvEELb0ELb1EEEvPKT0_S3E_T1_PT2_T3_T4_T5_iT6_T7_T8_T9_T10_T11_,"axG",@progbits,_ZN2ck16tensor_operation6device12_GLOBAL__N_137kernel_grouped_conv_fwd_dl_multiple_dINS_32GridwiseGemmDlMultipleD_km_kn_mnILi256EffNS_5TupleIJfEEEfNS0_12element_wise11PassThroughES8_NS7_7AddReluELNS_25InMemoryDataOperationEnumE0ENS_16TensorDescriptorINS5_IJNS_5EmbedINS5_IJiiiiiEEESD_Lb0EEENS_11PassThroughIiEENS_3PadIiiiLb0EEESI_SI_SG_SG_NSC_INS5_IJiiEEESJ_Lb0EEESK_SK_SG_NS_23Merge_v2_magic_divisionINS5_IJiiiiEEEEESN_NS_8RightPadIiiLb0EEESP_NS_7UnMergeISJ_Lb0EEESG_EEENS5_IJNS_8SequenceIJLi0EEEENST_IJLi1EEEENST_IJLi2EEEENST_IJLi3EEEENST_IJLi4EEEENST_IJLi5EEEENST_IJLi6EEEENST_IJLi7EEEENST_IJLi8EEEENST_IJLi9EEEENST_IJLi10EEEENST_IJLi11ELi13ELi15ELi17EEEENST_IJLi12ELi14ELi16ELi18EEEENST_IJLi19EEEENST_IJLi20EEEENST_IJLi22EEEENST_IJLi21EEEEEEENS5_IJNST_IJLi1ELi2ELi3ELi4ELi5EEEES10_S11_S12_S13_S14_NST_IJLi11EEEENST_IJLi12ELi13EEEENST_IJLi14ELi15EEEENST_IJLi16ELi17EEEENST_IJLi18EEEES17_S18_S1A_S19_NST_IJLi23ELi24EEEENST_IJLi25EEEEEEENST_IJLi23ELi25ELi24EEEElEENSB_INS5_IJSR_SP_SP_SR_SG_EEENS5_IJSU_SV_SW_SY_SX_EEENS5_IJNST_IJLi1ELi2EEEESX_SY_NST_IJLi5ELi6EEEES11_EEENST_IJLi5ELi7ELi6EEEElEENSB_INS5_IJSK_SP_SP_EEENS5_IJSU_SV_SW_EEENS5_IJS1P_SX_SY_EEENST_IJLi3ELi4EEEElEELi128ELi128ELi16ELi1ELi4ELi4ELi1ENST_IJLi8ELi2EEEES1Z_NST_IJLi8ELi1ELi1ELi1EEEENST_IJLi2ELi1ELi128ELi1EEEENST_IJLi1ELi2ELi0ELi3EEEES22_NST_IJLi4ELi1ELi1ELi1EEEES22_NST_IJLi1ELi1ELi1ELi1EEEES20_S21_S22_S22_S23_S22_S24_NST_IJLi0ELi1ELi2ELi3ELi4ELi5EEEELi5ELi4EEEfNS5_IJPKfEEEfS8_S8_S9_NSB_INS5_IJSE_SG_SI_SI_SI_SG_SG_SK_SK_SK_SG_SN_SN_SP_SP_SR_SG_SG_NSQ_INS5_IJiNS_17integral_constantIiLi128EEEEEELb0EEENSF_INS2A_IiLi1EEEEEEEENS5_IJSU_SV_SW_SX_SY_SZ_S10_S11_S12_S13_S14_S15_S16_S17_S18_S19_S1A_NST_IJLi23EEEES1J_NST_IJLi24EEEEEEENS5_IJS1C_S10_S11_S12_S13_S14_S1D_S1E_S1F_S1G_S1H_S17_S18_S1A_S19_S1I_S1J_NST_IJLi26EEEENST_IJLi27ELi28EEEENST_IJLi29EEEEEEENST_IJLi26ELi27ELi28ELi29EEEElEENSB_INS5_IJSR_SP_SP_SR_SG_SG_S2D_S2F_EEENS5_IJSU_SV_SW_SY_SX_SZ_S11_S10_EEENS5_IJS1P_SX_SY_S1Q_S11_S12_NST_IJLi9ELi10EEEES1D_EEENST_IJLi8ELi9ELi10ELi11EEEElEENS5_IJNSB_INS5_IJSK_SP_SP_NSQ_INS5_IJiNS2A_IiLi2EEENS2A_IiLi64EEEEEELb0EEES2Z_EEENS5_IJSU_SV_SW_SX_SY_EEENS5_IJS1P_SX_SY_NST_IJLi5ELi6ELi7EEEENST_IJLi8ELi9ELi10EEEEEEENST_IJLi5ELi6ELi7ELi8ELi9ELi10EEEElEEEEES36_NS_31BlockToCTileMap_M00_N00_M01_N01ILi128ELi128ES1Y_Lb0EEENS1_30ComputePtrOffsetOfStridedBatchILi1ELi1ELi1EvEELb0ELb1EEEvPKT0_S3E_T1_PT2_T3_T4_T5_iT6_T7_T8_T9_T10_T11_,comdat
.Lfunc_end17:
	.size	_ZN2ck16tensor_operation6device12_GLOBAL__N_137kernel_grouped_conv_fwd_dl_multiple_dINS_32GridwiseGemmDlMultipleD_km_kn_mnILi256EffNS_5TupleIJfEEEfNS0_12element_wise11PassThroughES8_NS7_7AddReluELNS_25InMemoryDataOperationEnumE0ENS_16TensorDescriptorINS5_IJNS_5EmbedINS5_IJiiiiiEEESD_Lb0EEENS_11PassThroughIiEENS_3PadIiiiLb0EEESI_SI_SG_SG_NSC_INS5_IJiiEEESJ_Lb0EEESK_SK_SG_NS_23Merge_v2_magic_divisionINS5_IJiiiiEEEEESN_NS_8RightPadIiiLb0EEESP_NS_7UnMergeISJ_Lb0EEESG_EEENS5_IJNS_8SequenceIJLi0EEEENST_IJLi1EEEENST_IJLi2EEEENST_IJLi3EEEENST_IJLi4EEEENST_IJLi5EEEENST_IJLi6EEEENST_IJLi7EEEENST_IJLi8EEEENST_IJLi9EEEENST_IJLi10EEEENST_IJLi11ELi13ELi15ELi17EEEENST_IJLi12ELi14ELi16ELi18EEEENST_IJLi19EEEENST_IJLi20EEEENST_IJLi22EEEENST_IJLi21EEEEEEENS5_IJNST_IJLi1ELi2ELi3ELi4ELi5EEEES10_S11_S12_S13_S14_NST_IJLi11EEEENST_IJLi12ELi13EEEENST_IJLi14ELi15EEEENST_IJLi16ELi17EEEENST_IJLi18EEEES17_S18_S1A_S19_NST_IJLi23ELi24EEEENST_IJLi25EEEEEEENST_IJLi23ELi25ELi24EEEElEENSB_INS5_IJSR_SP_SP_SR_SG_EEENS5_IJSU_SV_SW_SY_SX_EEENS5_IJNST_IJLi1ELi2EEEESX_SY_NST_IJLi5ELi6EEEES11_EEENST_IJLi5ELi7ELi6EEEElEENSB_INS5_IJSK_SP_SP_EEENS5_IJSU_SV_SW_EEENS5_IJS1P_SX_SY_EEENST_IJLi3ELi4EEEElEELi128ELi128ELi16ELi1ELi4ELi4ELi1ENST_IJLi8ELi2EEEES1Z_NST_IJLi8ELi1ELi1ELi1EEEENST_IJLi2ELi1ELi128ELi1EEEENST_IJLi1ELi2ELi0ELi3EEEES22_NST_IJLi4ELi1ELi1ELi1EEEES22_NST_IJLi1ELi1ELi1ELi1EEEES20_S21_S22_S22_S23_S22_S24_NST_IJLi0ELi1ELi2ELi3ELi4ELi5EEEELi5ELi4EEEfNS5_IJPKfEEEfS8_S8_S9_NSB_INS5_IJSE_SG_SI_SI_SI_SG_SG_SK_SK_SK_SG_SN_SN_SP_SP_SR_SG_SG_NSQ_INS5_IJiNS_17integral_constantIiLi128EEEEEELb0EEENSF_INS2A_IiLi1EEEEEEEENS5_IJSU_SV_SW_SX_SY_SZ_S10_S11_S12_S13_S14_S15_S16_S17_S18_S19_S1A_NST_IJLi23EEEES1J_NST_IJLi24EEEEEEENS5_IJS1C_S10_S11_S12_S13_S14_S1D_S1E_S1F_S1G_S1H_S17_S18_S1A_S19_S1I_S1J_NST_IJLi26EEEENST_IJLi27ELi28EEEENST_IJLi29EEEEEEENST_IJLi26ELi27ELi28ELi29EEEElEENSB_INS5_IJSR_SP_SP_SR_SG_SG_S2D_S2F_EEENS5_IJSU_SV_SW_SY_SX_SZ_S11_S10_EEENS5_IJS1P_SX_SY_S1Q_S11_S12_NST_IJLi9ELi10EEEES1D_EEENST_IJLi8ELi9ELi10ELi11EEEElEENS5_IJNSB_INS5_IJSK_SP_SP_NSQ_INS5_IJiNS2A_IiLi2EEENS2A_IiLi64EEEEEELb0EEES2Z_EEENS5_IJSU_SV_SW_SX_SY_EEENS5_IJS1P_SX_SY_NST_IJLi5ELi6ELi7EEEENST_IJLi8ELi9ELi10EEEEEEENST_IJLi5ELi6ELi7ELi8ELi9ELi10EEEElEEEEES36_NS_31BlockToCTileMap_M00_N00_M01_N01ILi128ELi128ES1Y_Lb0EEENS1_30ComputePtrOffsetOfStridedBatchILi1ELi1ELi1EvEELb0ELb1EEEvPKT0_S3E_T1_PT2_T3_T4_T5_iT6_T7_T8_T9_T10_T11_, .Lfunc_end17-_ZN2ck16tensor_operation6device12_GLOBAL__N_137kernel_grouped_conv_fwd_dl_multiple_dINS_32GridwiseGemmDlMultipleD_km_kn_mnILi256EffNS_5TupleIJfEEEfNS0_12element_wise11PassThroughES8_NS7_7AddReluELNS_25InMemoryDataOperationEnumE0ENS_16TensorDescriptorINS5_IJNS_5EmbedINS5_IJiiiiiEEESD_Lb0EEENS_11PassThroughIiEENS_3PadIiiiLb0EEESI_SI_SG_SG_NSC_INS5_IJiiEEESJ_Lb0EEESK_SK_SG_NS_23Merge_v2_magic_divisionINS5_IJiiiiEEEEESN_NS_8RightPadIiiLb0EEESP_NS_7UnMergeISJ_Lb0EEESG_EEENS5_IJNS_8SequenceIJLi0EEEENST_IJLi1EEEENST_IJLi2EEEENST_IJLi3EEEENST_IJLi4EEEENST_IJLi5EEEENST_IJLi6EEEENST_IJLi7EEEENST_IJLi8EEEENST_IJLi9EEEENST_IJLi10EEEENST_IJLi11ELi13ELi15ELi17EEEENST_IJLi12ELi14ELi16ELi18EEEENST_IJLi19EEEENST_IJLi20EEEENST_IJLi22EEEENST_IJLi21EEEEEEENS5_IJNST_IJLi1ELi2ELi3ELi4ELi5EEEES10_S11_S12_S13_S14_NST_IJLi11EEEENST_IJLi12ELi13EEEENST_IJLi14ELi15EEEENST_IJLi16ELi17EEEENST_IJLi18EEEES17_S18_S1A_S19_NST_IJLi23ELi24EEEENST_IJLi25EEEEEEENST_IJLi23ELi25ELi24EEEElEENSB_INS5_IJSR_SP_SP_SR_SG_EEENS5_IJSU_SV_SW_SY_SX_EEENS5_IJNST_IJLi1ELi2EEEESX_SY_NST_IJLi5ELi6EEEES11_EEENST_IJLi5ELi7ELi6EEEElEENSB_INS5_IJSK_SP_SP_EEENS5_IJSU_SV_SW_EEENS5_IJS1P_SX_SY_EEENST_IJLi3ELi4EEEElEELi128ELi128ELi16ELi1ELi4ELi4ELi1ENST_IJLi8ELi2EEEES1Z_NST_IJLi8ELi1ELi1ELi1EEEENST_IJLi2ELi1ELi128ELi1EEEENST_IJLi1ELi2ELi0ELi3EEEES22_NST_IJLi4ELi1ELi1ELi1EEEES22_NST_IJLi1ELi1ELi1ELi1EEEES20_S21_S22_S22_S23_S22_S24_NST_IJLi0ELi1ELi2ELi3ELi4ELi5EEEELi5ELi4EEEfNS5_IJPKfEEEfS8_S8_S9_NSB_INS5_IJSE_SG_SI_SI_SI_SG_SG_SK_SK_SK_SG_SN_SN_SP_SP_SR_SG_SG_NSQ_INS5_IJiNS_17integral_constantIiLi128EEEEEELb0EEENSF_INS2A_IiLi1EEEEEEEENS5_IJSU_SV_SW_SX_SY_SZ_S10_S11_S12_S13_S14_S15_S16_S17_S18_S19_S1A_NST_IJLi23EEEES1J_NST_IJLi24EEEEEEENS5_IJS1C_S10_S11_S12_S13_S14_S1D_S1E_S1F_S1G_S1H_S17_S18_S1A_S19_S1I_S1J_NST_IJLi26EEEENST_IJLi27ELi28EEEENST_IJLi29EEEEEEENST_IJLi26ELi27ELi28ELi29EEEElEENSB_INS5_IJSR_SP_SP_SR_SG_SG_S2D_S2F_EEENS5_IJSU_SV_SW_SY_SX_SZ_S11_S10_EEENS5_IJS1P_SX_SY_S1Q_S11_S12_NST_IJLi9ELi10EEEES1D_EEENST_IJLi8ELi9ELi10ELi11EEEElEENS5_IJNSB_INS5_IJSK_SP_SP_NSQ_INS5_IJiNS2A_IiLi2EEENS2A_IiLi64EEEEEELb0EEES2Z_EEENS5_IJSU_SV_SW_SX_SY_EEENS5_IJS1P_SX_SY_NST_IJLi5ELi6ELi7EEEENST_IJLi8ELi9ELi10EEEEEEENST_IJLi5ELi6ELi7ELi8ELi9ELi10EEEElEEEEES36_NS_31BlockToCTileMap_M00_N00_M01_N01ILi128ELi128ES1Y_Lb0EEENS1_30ComputePtrOffsetOfStridedBatchILi1ELi1ELi1EvEELb0ELb1EEEvPKT0_S3E_T1_PT2_T3_T4_T5_iT6_T7_T8_T9_T10_T11_
                                        ; -- End function
	.section	.AMDGPU.csdata,"",@progbits
; Kernel info:
; codeLenInByte = 47888
; NumSgprs: 78
; NumVgprs: 133
; ScratchSize: 0
; MemoryBound: 0
; FloatMode: 240
; IeeeMode: 1
; LDSByteSize: 32768 bytes/workgroup (compile time only)
; SGPRBlocks: 9
; VGPRBlocks: 16
; NumSGPRsForWavesPerEU: 78
; NumVGPRsForWavesPerEU: 133
; Occupancy: 8
; WaveLimiterHint : 0
; COMPUTE_PGM_RSRC2:SCRATCH_EN: 0
; COMPUTE_PGM_RSRC2:USER_SGPR: 15
; COMPUTE_PGM_RSRC2:TRAP_HANDLER: 0
; COMPUTE_PGM_RSRC2:TGID_X_EN: 1
; COMPUTE_PGM_RSRC2:TGID_Y_EN: 0
; COMPUTE_PGM_RSRC2:TGID_Z_EN: 0
; COMPUTE_PGM_RSRC2:TIDIG_COMP_CNT: 0
	.section	.text._ZN2ck16tensor_operation6device12_GLOBAL__N_137kernel_grouped_conv_fwd_dl_multiple_dINS_32GridwiseGemmDlMultipleD_km_kn_mnILi256EffNS_5TupleIJfEEEfNS0_12element_wise11PassThroughES8_NS7_7AddReluELNS_25InMemoryDataOperationEnumE0ENS_16TensorDescriptorINS5_IJNS_5EmbedINS5_IJiiiiiEEESD_Lb0EEENS_11PassThroughIiEENS_3PadIiiiLb0EEESI_SI_SG_SG_NSC_INS5_IJiiEEESJ_Lb0EEESK_SK_SG_NS_23Merge_v2_magic_divisionINS5_IJiiiiEEEEESN_NS_8RightPadIiiLb0EEESP_NS_7UnMergeISJ_Lb0EEESG_EEENS5_IJNS_8SequenceIJLi0EEEENST_IJLi1EEEENST_IJLi2EEEENST_IJLi3EEEENST_IJLi4EEEENST_IJLi5EEEENST_IJLi6EEEENST_IJLi7EEEENST_IJLi8EEEENST_IJLi9EEEENST_IJLi10EEEENST_IJLi11ELi13ELi15ELi17EEEENST_IJLi12ELi14ELi16ELi18EEEENST_IJLi19EEEENST_IJLi20EEEENST_IJLi22EEEENST_IJLi21EEEEEEENS5_IJNST_IJLi1ELi2ELi3ELi4ELi5EEEES10_S11_S12_S13_S14_NST_IJLi11EEEENST_IJLi12ELi13EEEENST_IJLi14ELi15EEEENST_IJLi16ELi17EEEENST_IJLi18EEEES17_S18_S1A_S19_NST_IJLi23ELi24EEEENST_IJLi25EEEEEEENST_IJLi23ELi25ELi24EEEElEENSB_INS5_IJSR_SP_SP_SR_SG_EEENS5_IJSU_SV_SW_SY_SX_EEENS5_IJNST_IJLi1ELi2EEEESX_SY_NST_IJLi5ELi6EEEES11_EEENST_IJLi5ELi7ELi6EEEElEENSB_INS5_IJSK_SP_SP_EEENS5_IJSU_SV_SW_EEENS5_IJS1P_SX_SY_EEENST_IJLi3ELi4EEEElEELi128ELi128ELi16ELi1ELi4ELi4ELi1ENST_IJLi8ELi2EEEES1Z_NST_IJLi8ELi1ELi1ELi1EEEENST_IJLi2ELi1ELi128ELi1EEEENST_IJLi1ELi2ELi0ELi3EEEES22_NST_IJLi4ELi1ELi1ELi1EEEES22_NST_IJLi1ELi1ELi1ELi1EEEES20_S21_S22_S22_S23_S22_S24_NST_IJLi0ELi1ELi2ELi3ELi4ELi5EEEELi5ELi4EEEfNS5_IJPKfEEEfS8_S8_S9_NSB_INS5_IJSE_SG_SI_SI_SI_SG_SG_SK_SK_SK_SG_SN_SN_SP_SP_SR_SG_SG_NSQ_INS5_IJiNS_17integral_constantIiLi128EEEEEELb0EEENSF_INS2A_IiLi1EEEEEEEENS5_IJSU_SV_SW_SX_SY_SZ_S10_S11_S12_S13_S14_S15_S16_S17_S18_S19_S1A_NST_IJLi23EEEES1J_NST_IJLi24EEEEEEENS5_IJS1C_S10_S11_S12_S13_S14_S1D_S1E_S1F_S1G_S1H_S17_S18_S1A_S19_S1I_S1J_NST_IJLi26EEEENST_IJLi27ELi28EEEENST_IJLi29EEEEEEENST_IJLi26ELi27ELi28ELi29EEEElEENSB_INS5_IJSR_SP_SP_SR_SG_SG_S2D_S2F_EEENS5_IJSU_SV_SW_SY_SX_SZ_S11_S10_EEENS5_IJS1P_SX_SY_S1Q_S11_S12_NST_IJLi9ELi10EEEES1D_EEENST_IJLi8ELi9ELi10ELi11EEEElEENS5_IJNSB_INS5_IJSK_SP_SP_NSQ_INS5_IJiNS2A_IiLi2EEENS2A_IiLi64EEEEEELb0EEES2Z_EEENS5_IJSU_SV_SW_SX_SY_EEENS5_IJS1P_SX_SY_NST_IJLi5ELi6ELi7EEEENST_IJLi8ELi9ELi10EEEEEEENST_IJLi5ELi6ELi7ELi8ELi9ELi10EEEElEEEEES36_NS_31BlockToCTileMap_M00_N00_M01_N01ILi128ELi128ES1Y_Lb0EEENS1_30ComputePtrOffsetOfStridedBatchILi1ELi1ELi1EvEELb0ELb0EEEvPKT0_S3E_T1_PT2_T3_T4_T5_iT6_T7_T8_T9_T10_T11_,"axG",@progbits,_ZN2ck16tensor_operation6device12_GLOBAL__N_137kernel_grouped_conv_fwd_dl_multiple_dINS_32GridwiseGemmDlMultipleD_km_kn_mnILi256EffNS_5TupleIJfEEEfNS0_12element_wise11PassThroughES8_NS7_7AddReluELNS_25InMemoryDataOperationEnumE0ENS_16TensorDescriptorINS5_IJNS_5EmbedINS5_IJiiiiiEEESD_Lb0EEENS_11PassThroughIiEENS_3PadIiiiLb0EEESI_SI_SG_SG_NSC_INS5_IJiiEEESJ_Lb0EEESK_SK_SG_NS_23Merge_v2_magic_divisionINS5_IJiiiiEEEEESN_NS_8RightPadIiiLb0EEESP_NS_7UnMergeISJ_Lb0EEESG_EEENS5_IJNS_8SequenceIJLi0EEEENST_IJLi1EEEENST_IJLi2EEEENST_IJLi3EEEENST_IJLi4EEEENST_IJLi5EEEENST_IJLi6EEEENST_IJLi7EEEENST_IJLi8EEEENST_IJLi9EEEENST_IJLi10EEEENST_IJLi11ELi13ELi15ELi17EEEENST_IJLi12ELi14ELi16ELi18EEEENST_IJLi19EEEENST_IJLi20EEEENST_IJLi22EEEENST_IJLi21EEEEEEENS5_IJNST_IJLi1ELi2ELi3ELi4ELi5EEEES10_S11_S12_S13_S14_NST_IJLi11EEEENST_IJLi12ELi13EEEENST_IJLi14ELi15EEEENST_IJLi16ELi17EEEENST_IJLi18EEEES17_S18_S1A_S19_NST_IJLi23ELi24EEEENST_IJLi25EEEEEEENST_IJLi23ELi25ELi24EEEElEENSB_INS5_IJSR_SP_SP_SR_SG_EEENS5_IJSU_SV_SW_SY_SX_EEENS5_IJNST_IJLi1ELi2EEEESX_SY_NST_IJLi5ELi6EEEES11_EEENST_IJLi5ELi7ELi6EEEElEENSB_INS5_IJSK_SP_SP_EEENS5_IJSU_SV_SW_EEENS5_IJS1P_SX_SY_EEENST_IJLi3ELi4EEEElEELi128ELi128ELi16ELi1ELi4ELi4ELi1ENST_IJLi8ELi2EEEES1Z_NST_IJLi8ELi1ELi1ELi1EEEENST_IJLi2ELi1ELi128ELi1EEEENST_IJLi1ELi2ELi0ELi3EEEES22_NST_IJLi4ELi1ELi1ELi1EEEES22_NST_IJLi1ELi1ELi1ELi1EEEES20_S21_S22_S22_S23_S22_S24_NST_IJLi0ELi1ELi2ELi3ELi4ELi5EEEELi5ELi4EEEfNS5_IJPKfEEEfS8_S8_S9_NSB_INS5_IJSE_SG_SI_SI_SI_SG_SG_SK_SK_SK_SG_SN_SN_SP_SP_SR_SG_SG_NSQ_INS5_IJiNS_17integral_constantIiLi128EEEEEELb0EEENSF_INS2A_IiLi1EEEEEEEENS5_IJSU_SV_SW_SX_SY_SZ_S10_S11_S12_S13_S14_S15_S16_S17_S18_S19_S1A_NST_IJLi23EEEES1J_NST_IJLi24EEEEEEENS5_IJS1C_S10_S11_S12_S13_S14_S1D_S1E_S1F_S1G_S1H_S17_S18_S1A_S19_S1I_S1J_NST_IJLi26EEEENST_IJLi27ELi28EEEENST_IJLi29EEEEEEENST_IJLi26ELi27ELi28ELi29EEEElEENSB_INS5_IJSR_SP_SP_SR_SG_SG_S2D_S2F_EEENS5_IJSU_SV_SW_SY_SX_SZ_S11_S10_EEENS5_IJS1P_SX_SY_S1Q_S11_S12_NST_IJLi9ELi10EEEES1D_EEENST_IJLi8ELi9ELi10ELi11EEEElEENS5_IJNSB_INS5_IJSK_SP_SP_NSQ_INS5_IJiNS2A_IiLi2EEENS2A_IiLi64EEEEEELb0EEES2Z_EEENS5_IJSU_SV_SW_SX_SY_EEENS5_IJS1P_SX_SY_NST_IJLi5ELi6ELi7EEEENST_IJLi8ELi9ELi10EEEEEEENST_IJLi5ELi6ELi7ELi8ELi9ELi10EEEElEEEEES36_NS_31BlockToCTileMap_M00_N00_M01_N01ILi128ELi128ES1Y_Lb0EEENS1_30ComputePtrOffsetOfStridedBatchILi1ELi1ELi1EvEELb0ELb0EEEvPKT0_S3E_T1_PT2_T3_T4_T5_iT6_T7_T8_T9_T10_T11_,comdat
	.globl	_ZN2ck16tensor_operation6device12_GLOBAL__N_137kernel_grouped_conv_fwd_dl_multiple_dINS_32GridwiseGemmDlMultipleD_km_kn_mnILi256EffNS_5TupleIJfEEEfNS0_12element_wise11PassThroughES8_NS7_7AddReluELNS_25InMemoryDataOperationEnumE0ENS_16TensorDescriptorINS5_IJNS_5EmbedINS5_IJiiiiiEEESD_Lb0EEENS_11PassThroughIiEENS_3PadIiiiLb0EEESI_SI_SG_SG_NSC_INS5_IJiiEEESJ_Lb0EEESK_SK_SG_NS_23Merge_v2_magic_divisionINS5_IJiiiiEEEEESN_NS_8RightPadIiiLb0EEESP_NS_7UnMergeISJ_Lb0EEESG_EEENS5_IJNS_8SequenceIJLi0EEEENST_IJLi1EEEENST_IJLi2EEEENST_IJLi3EEEENST_IJLi4EEEENST_IJLi5EEEENST_IJLi6EEEENST_IJLi7EEEENST_IJLi8EEEENST_IJLi9EEEENST_IJLi10EEEENST_IJLi11ELi13ELi15ELi17EEEENST_IJLi12ELi14ELi16ELi18EEEENST_IJLi19EEEENST_IJLi20EEEENST_IJLi22EEEENST_IJLi21EEEEEEENS5_IJNST_IJLi1ELi2ELi3ELi4ELi5EEEES10_S11_S12_S13_S14_NST_IJLi11EEEENST_IJLi12ELi13EEEENST_IJLi14ELi15EEEENST_IJLi16ELi17EEEENST_IJLi18EEEES17_S18_S1A_S19_NST_IJLi23ELi24EEEENST_IJLi25EEEEEEENST_IJLi23ELi25ELi24EEEElEENSB_INS5_IJSR_SP_SP_SR_SG_EEENS5_IJSU_SV_SW_SY_SX_EEENS5_IJNST_IJLi1ELi2EEEESX_SY_NST_IJLi5ELi6EEEES11_EEENST_IJLi5ELi7ELi6EEEElEENSB_INS5_IJSK_SP_SP_EEENS5_IJSU_SV_SW_EEENS5_IJS1P_SX_SY_EEENST_IJLi3ELi4EEEElEELi128ELi128ELi16ELi1ELi4ELi4ELi1ENST_IJLi8ELi2EEEES1Z_NST_IJLi8ELi1ELi1ELi1EEEENST_IJLi2ELi1ELi128ELi1EEEENST_IJLi1ELi2ELi0ELi3EEEES22_NST_IJLi4ELi1ELi1ELi1EEEES22_NST_IJLi1ELi1ELi1ELi1EEEES20_S21_S22_S22_S23_S22_S24_NST_IJLi0ELi1ELi2ELi3ELi4ELi5EEEELi5ELi4EEEfNS5_IJPKfEEEfS8_S8_S9_NSB_INS5_IJSE_SG_SI_SI_SI_SG_SG_SK_SK_SK_SG_SN_SN_SP_SP_SR_SG_SG_NSQ_INS5_IJiNS_17integral_constantIiLi128EEEEEELb0EEENSF_INS2A_IiLi1EEEEEEEENS5_IJSU_SV_SW_SX_SY_SZ_S10_S11_S12_S13_S14_S15_S16_S17_S18_S19_S1A_NST_IJLi23EEEES1J_NST_IJLi24EEEEEEENS5_IJS1C_S10_S11_S12_S13_S14_S1D_S1E_S1F_S1G_S1H_S17_S18_S1A_S19_S1I_S1J_NST_IJLi26EEEENST_IJLi27ELi28EEEENST_IJLi29EEEEEEENST_IJLi26ELi27ELi28ELi29EEEElEENSB_INS5_IJSR_SP_SP_SR_SG_SG_S2D_S2F_EEENS5_IJSU_SV_SW_SY_SX_SZ_S11_S10_EEENS5_IJS1P_SX_SY_S1Q_S11_S12_NST_IJLi9ELi10EEEES1D_EEENST_IJLi8ELi9ELi10ELi11EEEElEENS5_IJNSB_INS5_IJSK_SP_SP_NSQ_INS5_IJiNS2A_IiLi2EEENS2A_IiLi64EEEEEELb0EEES2Z_EEENS5_IJSU_SV_SW_SX_SY_EEENS5_IJS1P_SX_SY_NST_IJLi5ELi6ELi7EEEENST_IJLi8ELi9ELi10EEEEEEENST_IJLi5ELi6ELi7ELi8ELi9ELi10EEEElEEEEES36_NS_31BlockToCTileMap_M00_N00_M01_N01ILi128ELi128ES1Y_Lb0EEENS1_30ComputePtrOffsetOfStridedBatchILi1ELi1ELi1EvEELb0ELb0EEEvPKT0_S3E_T1_PT2_T3_T4_T5_iT6_T7_T8_T9_T10_T11_ ; -- Begin function _ZN2ck16tensor_operation6device12_GLOBAL__N_137kernel_grouped_conv_fwd_dl_multiple_dINS_32GridwiseGemmDlMultipleD_km_kn_mnILi256EffNS_5TupleIJfEEEfNS0_12element_wise11PassThroughES8_NS7_7AddReluELNS_25InMemoryDataOperationEnumE0ENS_16TensorDescriptorINS5_IJNS_5EmbedINS5_IJiiiiiEEESD_Lb0EEENS_11PassThroughIiEENS_3PadIiiiLb0EEESI_SI_SG_SG_NSC_INS5_IJiiEEESJ_Lb0EEESK_SK_SG_NS_23Merge_v2_magic_divisionINS5_IJiiiiEEEEESN_NS_8RightPadIiiLb0EEESP_NS_7UnMergeISJ_Lb0EEESG_EEENS5_IJNS_8SequenceIJLi0EEEENST_IJLi1EEEENST_IJLi2EEEENST_IJLi3EEEENST_IJLi4EEEENST_IJLi5EEEENST_IJLi6EEEENST_IJLi7EEEENST_IJLi8EEEENST_IJLi9EEEENST_IJLi10EEEENST_IJLi11ELi13ELi15ELi17EEEENST_IJLi12ELi14ELi16ELi18EEEENST_IJLi19EEEENST_IJLi20EEEENST_IJLi22EEEENST_IJLi21EEEEEEENS5_IJNST_IJLi1ELi2ELi3ELi4ELi5EEEES10_S11_S12_S13_S14_NST_IJLi11EEEENST_IJLi12ELi13EEEENST_IJLi14ELi15EEEENST_IJLi16ELi17EEEENST_IJLi18EEEES17_S18_S1A_S19_NST_IJLi23ELi24EEEENST_IJLi25EEEEEEENST_IJLi23ELi25ELi24EEEElEENSB_INS5_IJSR_SP_SP_SR_SG_EEENS5_IJSU_SV_SW_SY_SX_EEENS5_IJNST_IJLi1ELi2EEEESX_SY_NST_IJLi5ELi6EEEES11_EEENST_IJLi5ELi7ELi6EEEElEENSB_INS5_IJSK_SP_SP_EEENS5_IJSU_SV_SW_EEENS5_IJS1P_SX_SY_EEENST_IJLi3ELi4EEEElEELi128ELi128ELi16ELi1ELi4ELi4ELi1ENST_IJLi8ELi2EEEES1Z_NST_IJLi8ELi1ELi1ELi1EEEENST_IJLi2ELi1ELi128ELi1EEEENST_IJLi1ELi2ELi0ELi3EEEES22_NST_IJLi4ELi1ELi1ELi1EEEES22_NST_IJLi1ELi1ELi1ELi1EEEES20_S21_S22_S22_S23_S22_S24_NST_IJLi0ELi1ELi2ELi3ELi4ELi5EEEELi5ELi4EEEfNS5_IJPKfEEEfS8_S8_S9_NSB_INS5_IJSE_SG_SI_SI_SI_SG_SG_SK_SK_SK_SG_SN_SN_SP_SP_SR_SG_SG_NSQ_INS5_IJiNS_17integral_constantIiLi128EEEEEELb0EEENSF_INS2A_IiLi1EEEEEEEENS5_IJSU_SV_SW_SX_SY_SZ_S10_S11_S12_S13_S14_S15_S16_S17_S18_S19_S1A_NST_IJLi23EEEES1J_NST_IJLi24EEEEEEENS5_IJS1C_S10_S11_S12_S13_S14_S1D_S1E_S1F_S1G_S1H_S17_S18_S1A_S19_S1I_S1J_NST_IJLi26EEEENST_IJLi27ELi28EEEENST_IJLi29EEEEEEENST_IJLi26ELi27ELi28ELi29EEEElEENSB_INS5_IJSR_SP_SP_SR_SG_SG_S2D_S2F_EEENS5_IJSU_SV_SW_SY_SX_SZ_S11_S10_EEENS5_IJS1P_SX_SY_S1Q_S11_S12_NST_IJLi9ELi10EEEES1D_EEENST_IJLi8ELi9ELi10ELi11EEEElEENS5_IJNSB_INS5_IJSK_SP_SP_NSQ_INS5_IJiNS2A_IiLi2EEENS2A_IiLi64EEEEEELb0EEES2Z_EEENS5_IJSU_SV_SW_SX_SY_EEENS5_IJS1P_SX_SY_NST_IJLi5ELi6ELi7EEEENST_IJLi8ELi9ELi10EEEEEEENST_IJLi5ELi6ELi7ELi8ELi9ELi10EEEElEEEEES36_NS_31BlockToCTileMap_M00_N00_M01_N01ILi128ELi128ES1Y_Lb0EEENS1_30ComputePtrOffsetOfStridedBatchILi1ELi1ELi1EvEELb0ELb0EEEvPKT0_S3E_T1_PT2_T3_T4_T5_iT6_T7_T8_T9_T10_T11_
	.p2align	8
	.type	_ZN2ck16tensor_operation6device12_GLOBAL__N_137kernel_grouped_conv_fwd_dl_multiple_dINS_32GridwiseGemmDlMultipleD_km_kn_mnILi256EffNS_5TupleIJfEEEfNS0_12element_wise11PassThroughES8_NS7_7AddReluELNS_25InMemoryDataOperationEnumE0ENS_16TensorDescriptorINS5_IJNS_5EmbedINS5_IJiiiiiEEESD_Lb0EEENS_11PassThroughIiEENS_3PadIiiiLb0EEESI_SI_SG_SG_NSC_INS5_IJiiEEESJ_Lb0EEESK_SK_SG_NS_23Merge_v2_magic_divisionINS5_IJiiiiEEEEESN_NS_8RightPadIiiLb0EEESP_NS_7UnMergeISJ_Lb0EEESG_EEENS5_IJNS_8SequenceIJLi0EEEENST_IJLi1EEEENST_IJLi2EEEENST_IJLi3EEEENST_IJLi4EEEENST_IJLi5EEEENST_IJLi6EEEENST_IJLi7EEEENST_IJLi8EEEENST_IJLi9EEEENST_IJLi10EEEENST_IJLi11ELi13ELi15ELi17EEEENST_IJLi12ELi14ELi16ELi18EEEENST_IJLi19EEEENST_IJLi20EEEENST_IJLi22EEEENST_IJLi21EEEEEEENS5_IJNST_IJLi1ELi2ELi3ELi4ELi5EEEES10_S11_S12_S13_S14_NST_IJLi11EEEENST_IJLi12ELi13EEEENST_IJLi14ELi15EEEENST_IJLi16ELi17EEEENST_IJLi18EEEES17_S18_S1A_S19_NST_IJLi23ELi24EEEENST_IJLi25EEEEEEENST_IJLi23ELi25ELi24EEEElEENSB_INS5_IJSR_SP_SP_SR_SG_EEENS5_IJSU_SV_SW_SY_SX_EEENS5_IJNST_IJLi1ELi2EEEESX_SY_NST_IJLi5ELi6EEEES11_EEENST_IJLi5ELi7ELi6EEEElEENSB_INS5_IJSK_SP_SP_EEENS5_IJSU_SV_SW_EEENS5_IJS1P_SX_SY_EEENST_IJLi3ELi4EEEElEELi128ELi128ELi16ELi1ELi4ELi4ELi1ENST_IJLi8ELi2EEEES1Z_NST_IJLi8ELi1ELi1ELi1EEEENST_IJLi2ELi1ELi128ELi1EEEENST_IJLi1ELi2ELi0ELi3EEEES22_NST_IJLi4ELi1ELi1ELi1EEEES22_NST_IJLi1ELi1ELi1ELi1EEEES20_S21_S22_S22_S23_S22_S24_NST_IJLi0ELi1ELi2ELi3ELi4ELi5EEEELi5ELi4EEEfNS5_IJPKfEEEfS8_S8_S9_NSB_INS5_IJSE_SG_SI_SI_SI_SG_SG_SK_SK_SK_SG_SN_SN_SP_SP_SR_SG_SG_NSQ_INS5_IJiNS_17integral_constantIiLi128EEEEEELb0EEENSF_INS2A_IiLi1EEEEEEEENS5_IJSU_SV_SW_SX_SY_SZ_S10_S11_S12_S13_S14_S15_S16_S17_S18_S19_S1A_NST_IJLi23EEEES1J_NST_IJLi24EEEEEEENS5_IJS1C_S10_S11_S12_S13_S14_S1D_S1E_S1F_S1G_S1H_S17_S18_S1A_S19_S1I_S1J_NST_IJLi26EEEENST_IJLi27ELi28EEEENST_IJLi29EEEEEEENST_IJLi26ELi27ELi28ELi29EEEElEENSB_INS5_IJSR_SP_SP_SR_SG_SG_S2D_S2F_EEENS5_IJSU_SV_SW_SY_SX_SZ_S11_S10_EEENS5_IJS1P_SX_SY_S1Q_S11_S12_NST_IJLi9ELi10EEEES1D_EEENST_IJLi8ELi9ELi10ELi11EEEElEENS5_IJNSB_INS5_IJSK_SP_SP_NSQ_INS5_IJiNS2A_IiLi2EEENS2A_IiLi64EEEEEELb0EEES2Z_EEENS5_IJSU_SV_SW_SX_SY_EEENS5_IJS1P_SX_SY_NST_IJLi5ELi6ELi7EEEENST_IJLi8ELi9ELi10EEEEEEENST_IJLi5ELi6ELi7ELi8ELi9ELi10EEEElEEEEES36_NS_31BlockToCTileMap_M00_N00_M01_N01ILi128ELi128ES1Y_Lb0EEENS1_30ComputePtrOffsetOfStridedBatchILi1ELi1ELi1EvEELb0ELb0EEEvPKT0_S3E_T1_PT2_T3_T4_T5_iT6_T7_T8_T9_T10_T11_,@function
_ZN2ck16tensor_operation6device12_GLOBAL__N_137kernel_grouped_conv_fwd_dl_multiple_dINS_32GridwiseGemmDlMultipleD_km_kn_mnILi256EffNS_5TupleIJfEEEfNS0_12element_wise11PassThroughES8_NS7_7AddReluELNS_25InMemoryDataOperationEnumE0ENS_16TensorDescriptorINS5_IJNS_5EmbedINS5_IJiiiiiEEESD_Lb0EEENS_11PassThroughIiEENS_3PadIiiiLb0EEESI_SI_SG_SG_NSC_INS5_IJiiEEESJ_Lb0EEESK_SK_SG_NS_23Merge_v2_magic_divisionINS5_IJiiiiEEEEESN_NS_8RightPadIiiLb0EEESP_NS_7UnMergeISJ_Lb0EEESG_EEENS5_IJNS_8SequenceIJLi0EEEENST_IJLi1EEEENST_IJLi2EEEENST_IJLi3EEEENST_IJLi4EEEENST_IJLi5EEEENST_IJLi6EEEENST_IJLi7EEEENST_IJLi8EEEENST_IJLi9EEEENST_IJLi10EEEENST_IJLi11ELi13ELi15ELi17EEEENST_IJLi12ELi14ELi16ELi18EEEENST_IJLi19EEEENST_IJLi20EEEENST_IJLi22EEEENST_IJLi21EEEEEEENS5_IJNST_IJLi1ELi2ELi3ELi4ELi5EEEES10_S11_S12_S13_S14_NST_IJLi11EEEENST_IJLi12ELi13EEEENST_IJLi14ELi15EEEENST_IJLi16ELi17EEEENST_IJLi18EEEES17_S18_S1A_S19_NST_IJLi23ELi24EEEENST_IJLi25EEEEEEENST_IJLi23ELi25ELi24EEEElEENSB_INS5_IJSR_SP_SP_SR_SG_EEENS5_IJSU_SV_SW_SY_SX_EEENS5_IJNST_IJLi1ELi2EEEESX_SY_NST_IJLi5ELi6EEEES11_EEENST_IJLi5ELi7ELi6EEEElEENSB_INS5_IJSK_SP_SP_EEENS5_IJSU_SV_SW_EEENS5_IJS1P_SX_SY_EEENST_IJLi3ELi4EEEElEELi128ELi128ELi16ELi1ELi4ELi4ELi1ENST_IJLi8ELi2EEEES1Z_NST_IJLi8ELi1ELi1ELi1EEEENST_IJLi2ELi1ELi128ELi1EEEENST_IJLi1ELi2ELi0ELi3EEEES22_NST_IJLi4ELi1ELi1ELi1EEEES22_NST_IJLi1ELi1ELi1ELi1EEEES20_S21_S22_S22_S23_S22_S24_NST_IJLi0ELi1ELi2ELi3ELi4ELi5EEEELi5ELi4EEEfNS5_IJPKfEEEfS8_S8_S9_NSB_INS5_IJSE_SG_SI_SI_SI_SG_SG_SK_SK_SK_SG_SN_SN_SP_SP_SR_SG_SG_NSQ_INS5_IJiNS_17integral_constantIiLi128EEEEEELb0EEENSF_INS2A_IiLi1EEEEEEEENS5_IJSU_SV_SW_SX_SY_SZ_S10_S11_S12_S13_S14_S15_S16_S17_S18_S19_S1A_NST_IJLi23EEEES1J_NST_IJLi24EEEEEEENS5_IJS1C_S10_S11_S12_S13_S14_S1D_S1E_S1F_S1G_S1H_S17_S18_S1A_S19_S1I_S1J_NST_IJLi26EEEENST_IJLi27ELi28EEEENST_IJLi29EEEEEEENST_IJLi26ELi27ELi28ELi29EEEElEENSB_INS5_IJSR_SP_SP_SR_SG_SG_S2D_S2F_EEENS5_IJSU_SV_SW_SY_SX_SZ_S11_S10_EEENS5_IJS1P_SX_SY_S1Q_S11_S12_NST_IJLi9ELi10EEEES1D_EEENST_IJLi8ELi9ELi10ELi11EEEElEENS5_IJNSB_INS5_IJSK_SP_SP_NSQ_INS5_IJiNS2A_IiLi2EEENS2A_IiLi64EEEEEELb0EEES2Z_EEENS5_IJSU_SV_SW_SX_SY_EEENS5_IJS1P_SX_SY_NST_IJLi5ELi6ELi7EEEENST_IJLi8ELi9ELi10EEEEEEENST_IJLi5ELi6ELi7ELi8ELi9ELi10EEEElEEEEES36_NS_31BlockToCTileMap_M00_N00_M01_N01ILi128ELi128ES1Y_Lb0EEENS1_30ComputePtrOffsetOfStridedBatchILi1ELi1ELi1EvEELb0ELb0EEEvPKT0_S3E_T1_PT2_T3_T4_T5_iT6_T7_T8_T9_T10_T11_: ; @_ZN2ck16tensor_operation6device12_GLOBAL__N_137kernel_grouped_conv_fwd_dl_multiple_dINS_32GridwiseGemmDlMultipleD_km_kn_mnILi256EffNS_5TupleIJfEEEfNS0_12element_wise11PassThroughES8_NS7_7AddReluELNS_25InMemoryDataOperationEnumE0ENS_16TensorDescriptorINS5_IJNS_5EmbedINS5_IJiiiiiEEESD_Lb0EEENS_11PassThroughIiEENS_3PadIiiiLb0EEESI_SI_SG_SG_NSC_INS5_IJiiEEESJ_Lb0EEESK_SK_SG_NS_23Merge_v2_magic_divisionINS5_IJiiiiEEEEESN_NS_8RightPadIiiLb0EEESP_NS_7UnMergeISJ_Lb0EEESG_EEENS5_IJNS_8SequenceIJLi0EEEENST_IJLi1EEEENST_IJLi2EEEENST_IJLi3EEEENST_IJLi4EEEENST_IJLi5EEEENST_IJLi6EEEENST_IJLi7EEEENST_IJLi8EEEENST_IJLi9EEEENST_IJLi10EEEENST_IJLi11ELi13ELi15ELi17EEEENST_IJLi12ELi14ELi16ELi18EEEENST_IJLi19EEEENST_IJLi20EEEENST_IJLi22EEEENST_IJLi21EEEEEEENS5_IJNST_IJLi1ELi2ELi3ELi4ELi5EEEES10_S11_S12_S13_S14_NST_IJLi11EEEENST_IJLi12ELi13EEEENST_IJLi14ELi15EEEENST_IJLi16ELi17EEEENST_IJLi18EEEES17_S18_S1A_S19_NST_IJLi23ELi24EEEENST_IJLi25EEEEEEENST_IJLi23ELi25ELi24EEEElEENSB_INS5_IJSR_SP_SP_SR_SG_EEENS5_IJSU_SV_SW_SY_SX_EEENS5_IJNST_IJLi1ELi2EEEESX_SY_NST_IJLi5ELi6EEEES11_EEENST_IJLi5ELi7ELi6EEEElEENSB_INS5_IJSK_SP_SP_EEENS5_IJSU_SV_SW_EEENS5_IJS1P_SX_SY_EEENST_IJLi3ELi4EEEElEELi128ELi128ELi16ELi1ELi4ELi4ELi1ENST_IJLi8ELi2EEEES1Z_NST_IJLi8ELi1ELi1ELi1EEEENST_IJLi2ELi1ELi128ELi1EEEENST_IJLi1ELi2ELi0ELi3EEEES22_NST_IJLi4ELi1ELi1ELi1EEEES22_NST_IJLi1ELi1ELi1ELi1EEEES20_S21_S22_S22_S23_S22_S24_NST_IJLi0ELi1ELi2ELi3ELi4ELi5EEEELi5ELi4EEEfNS5_IJPKfEEEfS8_S8_S9_NSB_INS5_IJSE_SG_SI_SI_SI_SG_SG_SK_SK_SK_SG_SN_SN_SP_SP_SR_SG_SG_NSQ_INS5_IJiNS_17integral_constantIiLi128EEEEEELb0EEENSF_INS2A_IiLi1EEEEEEEENS5_IJSU_SV_SW_SX_SY_SZ_S10_S11_S12_S13_S14_S15_S16_S17_S18_S19_S1A_NST_IJLi23EEEES1J_NST_IJLi24EEEEEEENS5_IJS1C_S10_S11_S12_S13_S14_S1D_S1E_S1F_S1G_S1H_S17_S18_S1A_S19_S1I_S1J_NST_IJLi26EEEENST_IJLi27ELi28EEEENST_IJLi29EEEEEEENST_IJLi26ELi27ELi28ELi29EEEElEENSB_INS5_IJSR_SP_SP_SR_SG_SG_S2D_S2F_EEENS5_IJSU_SV_SW_SY_SX_SZ_S11_S10_EEENS5_IJS1P_SX_SY_S1Q_S11_S12_NST_IJLi9ELi10EEEES1D_EEENST_IJLi8ELi9ELi10ELi11EEEElEENS5_IJNSB_INS5_IJSK_SP_SP_NSQ_INS5_IJiNS2A_IiLi2EEENS2A_IiLi64EEEEEELb0EEES2Z_EEENS5_IJSU_SV_SW_SX_SY_EEENS5_IJS1P_SX_SY_NST_IJLi5ELi6ELi7EEEENST_IJLi8ELi9ELi10EEEEEEENST_IJLi5ELi6ELi7ELi8ELi9ELi10EEEElEEEEES36_NS_31BlockToCTileMap_M00_N00_M01_N01ILi128ELi128ES1Y_Lb0EEENS1_30ComputePtrOffsetOfStridedBatchILi1ELi1ELi1EvEELb0ELb0EEEvPKT0_S3E_T1_PT2_T3_T4_T5_iT6_T7_T8_T9_T10_T11_
; %bb.0:
	s_clause 0x5
	s_load_b32 s2, s[0:1], 0x24
	s_load_b128 s[44:47], s[0:1], 0x3c
	s_load_b32 s34, s[0:1], 0x4c
	s_load_b32 s4, s[0:1], 0x300
	s_load_b256 s[24:31], s[0:1], 0x2d8
	s_load_b128 s[64:67], s[0:1], 0x2c0
	v_lshrrev_b32_e32 v64, 1, v0
	s_load_b32 s62, s[0:1], 0x28c
	v_mov_b32_e32 v41, 0
	v_dual_mov_b32 v29, 0 :: v_dual_mov_b32 v48, 0
	s_delay_alu instid0(VALU_DEP_3)
	v_lshlrev_b32_e32 v79, 2, v64
	v_mov_b32_e32 v27, 0
	v_dual_mov_b32 v19, 0 :: v_dual_mov_b32 v42, 0
	v_dual_mov_b32 v21, 0 :: v_dual_mov_b32 v34, 0
	;; [unrolled: 1-line block ×4, first 2 shown]
	s_waitcnt lgkmcnt(0)
	s_abs_i32 s3, s2
	v_dual_mov_b32 v49, 0 :: v_dual_mov_b32 v26, 0
	v_cvt_f32_u32_e32 v1, s3
	s_sub_i32 s6, 0, s3
	s_abs_i32 s7, s4
	s_xor_b32 s2, s4, s2
	v_dual_mov_b32 v47, 0 :: v_dual_mov_b32 v22, 0
	v_rcp_iflag_f32_e32 v1, v1
	s_ashr_i32 s2, s2, 31
	v_mov_b32_e32 v33, 0
	v_dual_mov_b32 v31, 0 :: v_dual_mov_b32 v40, 0
	v_mov_b32_e32 v32, 0
	v_dual_mov_b32 v28, 0 :: v_dual_mov_b32 v39, 0
	v_mov_b32_e32 v18, 0
	s_waitcnt_depctr 0xfff
	v_dual_mov_b32 v20, 0 :: v_dual_mul_f32 v1, 0x4f7ffffe, v1
	v_mov_b32_e32 v16, 0
	v_mov_b32_e32 v50, 0
	s_delay_alu instid0(VALU_DEP_3) | instskip(NEXT) | instid1(VALU_DEP_1)
	v_cvt_u32_f32_e32 v1, v1
	v_readfirstlane_b32 s5, v1
	s_delay_alu instid0(VALU_DEP_1) | instskip(NEXT) | instid1(SALU_CYCLE_1)
	s_mul_i32 s6, s6, s5
	s_mul_hi_u32 s6, s5, s6
	s_delay_alu instid0(SALU_CYCLE_1) | instskip(NEXT) | instid1(SALU_CYCLE_1)
	s_add_i32 s5, s5, s6
	s_mul_hi_u32 s5, s7, s5
	s_delay_alu instid0(SALU_CYCLE_1) | instskip(SKIP_2) | instid1(SALU_CYCLE_1)
	s_mul_i32 s4, s5, s3
	s_add_i32 s6, s5, 1
	s_sub_i32 s4, s7, s4
	s_sub_i32 s7, s4, s3
	s_cmp_ge_u32 s4, s3
	s_cselect_b32 s5, s6, s5
	s_cselect_b32 s4, s7, s4
	s_add_i32 s6, s5, 1
	s_cmp_ge_u32 s4, s3
	s_cselect_b32 s3, s6, s5
	s_clause 0x1
	s_load_b256 s[16:23], s[0:1], 0x0
	s_load_b256 s[4:11], s[0:1], 0xec
	s_xor_b32 s3, s3, s2
	s_abs_i32 s14, s15
	s_sub_i32 s3, s3, s2
	s_clause 0x1
	s_load_b128 s[52:55], s[0:1], 0x10c
	s_load_b32 s33, s[0:1], 0x120
	s_waitcnt lgkmcnt(0)
	s_clause 0x1
	s_load_b32 s7, s[0:1], 0x12c
	s_load_b32 s2, s[0:1], 0x13c
	s_abs_i32 s12, s3
	s_xor_b32 s3, s15, s3
	v_cvt_f32_u32_e32 v1, s12
	s_sub_i32 s13, 0, s12
	s_ashr_i32 s3, s3, 31
	s_clause 0x1
	s_load_b128 s[48:51], s[0:1], 0x298
	s_load_b128 s[56:59], s[0:1], 0x2ac
	v_rcp_iflag_f32_e32 v1, v1
	s_waitcnt_depctr 0xfff
	v_mul_f32_e32 v1, 0x4f7ffffe, v1
	s_delay_alu instid0(VALU_DEP_1) | instskip(NEXT) | instid1(VALU_DEP_1)
	v_cvt_u32_f32_e32 v1, v1
	v_readfirstlane_b32 s11, v1
	v_lshlrev_b32_e32 v1, 3, v0
	s_delay_alu instid0(VALU_DEP_2) | instskip(NEXT) | instid1(VALU_DEP_1)
	s_mul_i32 s13, s13, s11
	v_and_b32_e32 v66, 8, v1
	s_mul_hi_u32 s13, s11, s13
	s_delay_alu instid0(SALU_CYCLE_1) | instskip(NEXT) | instid1(SALU_CYCLE_1)
	s_add_i32 s11, s11, s13
	s_mul_hi_u32 s11, s14, s11
	s_delay_alu instid0(VALU_DEP_1)
	v_or_b32_e32 v1, 4, v66
	s_mul_i32 s13, s11, s12
	s_waitcnt lgkmcnt(0)
	v_mul_lo_u32 v72, s2, v66
	s_sub_i32 s13, s14, s13
	s_add_i32 s14, s11, 1
	s_sub_i32 s35, s13, s12
	s_cmp_ge_u32 s13, s12
	v_mul_lo_u32 v73, s2, v1
	s_cselect_b32 s11, s14, s11
	s_cselect_b32 s13, s35, s13
	s_add_i32 s14, s11, 1
	s_cmp_ge_u32 s13, s12
	v_mul_hi_u32 v1, v72, s10
	s_cselect_b32 s11, s14, s11
	s_mul_hi_u32 s14, s59, s15
	s_xor_b32 s11, s11, s3
	v_mul_hi_u32 v2, v73, s10
	s_sub_i32 s3, s11, s3
	v_cmp_gt_i32_e32 vcc_lo, s7, v72
	s_ashr_i32 s11, s3, 31
	s_mul_hi_u32 s13, s24, s3
	s_mul_i32 s12, s24, s3
	s_mul_hi_u32 s38, s28, s3
	s_mul_i32 s24, s24, s11
	s_mul_i32 s39, s26, s11
	;; [unrolled: 1-line block ×4, first 2 shown]
	s_mul_hi_u32 s35, s26, s3
	s_mul_hi_u32 s37, s30, s3
	s_mul_i32 s29, s29, s3
	s_add_i32 s11, s38, s11
	s_mul_i32 s36, s28, s3
	s_add_i32 s13, s13, s24
	s_add_i32 s24, s35, s39
	;; [unrolled: 1-line block ×4, first 2 shown]
	s_mul_i32 s25, s25, s3
	s_mul_i32 s27, s27, s3
	;; [unrolled: 1-line block ×3, first 2 shown]
	s_lshl_b64 s[28:29], s[36:37], 2
	s_add_i32 s13, s13, s25
	s_add_i32 s25, s24, s27
	;; [unrolled: 1-line block ×3, first 2 shown]
	s_add_u32 s40, s20, s28
	s_addc_u32 s41, s21, s29
	s_lshl_b64 s[12:13], s[12:13], 2
	s_mul_i32 s24, s26, s3
	s_add_u32 s36, s16, s12
	s_addc_u32 s37, s17, s13
	s_lshl_b64 s[12:13], s[24:25], 2
	s_mul_i32 s26, s30, s3
	s_add_u32 s60, s18, s12
	s_addc_u32 s61, s19, s13
	s_lshl_b64 s[12:13], s[26:27], 2
	s_clause 0x1
	s_load_b32 s3, s[0:1], 0x27c
	s_load_b256 s[24:31], s[0:1], 0xb8
	s_add_u32 s12, s22, s12
	s_addc_u32 s13, s23, s13
	s_add_i32 s2, s15, s14
	v_add_nc_u32_e32 v1, v72, v1
	s_lshr_b32 s38, s2, s67
	v_add_nc_u32_e32 v2, v73, v2
	s_mul_hi_u32 s2, s38, s58
	s_load_b256 s[16:23], s[0:1], 0x54
	s_add_i32 s2, s38, s2
	v_lshrrev_b32_e32 v4, s54, v1
	s_lshr_b32 s55, s2, s66
	v_lshrrev_b32_e32 v6, s54, v2
	s_mul_hi_u32 s2, s55, s57
	s_mul_i32 s10, s55, s50
	s_add_i32 s2, s55, s2
	v_mul_hi_u32 v1, v4, s9
	s_lshr_b32 s65, s2, s65
	s_sub_i32 s10, s38, s10
	s_mul_hi_u32 s2, s65, s56
	v_mul_hi_u32 v2, v6, s9
	s_add_i32 s2, s65, s2
	s_load_b128 s[56:59], s[0:1], 0xd8
	s_lshr_b32 s2, s2, s64
	v_add_nc_u32_e32 v1, v4, v1
	s_mul_i32 s2, s2, s48
	v_mul_lo_u32 v3, v4, s6
	s_sub_i32 s2, s65, s2
	v_add_nc_u32_e32 v2, v6, v2
	s_waitcnt lgkmcnt(0)
	s_mul_i32 s2, s2, s3
	v_lshrrev_b32_e32 v7, s53, v1
	s_add_i32 s10, s10, s2
	s_mul_i32 s65, s65, s49
	s_lshl_b32 s27, s10, 7
	v_lshrrev_b32_e32 v8, s53, v2
	v_or_b32_e32 v74, s27, v64
	v_mul_hi_u32 v2, v7, s8
	v_mul_lo_u32 v9, v7, s5
	v_sub_nc_u32_e32 v1, v72, v3
	s_clause 0x2
	s_load_b64 s[2:3], s[0:1], 0x88
	s_load_b64 s[10:11], s[0:1], 0x98
	;; [unrolled: 1-line block ×3, first 2 shown]
	v_mul_hi_u32 v5, v74, s30
	s_clause 0x4
	s_load_b32 s48, s[0:1], 0x160
	s_load_b32 s50, s[0:1], 0x170
	;; [unrolled: 1-line block ×5, first 2 shown]
	s_mul_i32 s38, s38, s51
	v_mul_lo_u32 v13, v1, s34
	v_add_nc_u32_e32 v11, v7, v2
	s_mov_b32 s39, 0x31004000
	s_sub_i32 s16, s16, s18
	s_mov_b32 s63, s39
	v_add_nc_u32_e32 v3, v74, v5
	v_mul_hi_u32 v5, v8, s8
	v_lshrrev_b32_e32 v11, s52, v11
	s_clause 0x2
	s_load_b32 s8, s[0:1], 0x1c0
	s_load_b64 s[30:31], s[0:1], 0x1d0
	s_load_b32 s14, s[0:1], 0x1dc
	v_lshrrev_b32_e32 v10, s58, v3
	v_mad_u64_u32 v[2:3], null, v6, s6, v[1:2]
	v_sub_nc_u32_e32 v3, v4, v9
	v_add_nc_u32_e32 v12, v8, v5
	s_delay_alu instid0(VALU_DEP_4) | instskip(NEXT) | instid1(VALU_DEP_3)
	v_mul_hi_u32 v9, v10, s29
	v_mad_u64_u32 v[4:5], null, v8, s5, v[3:4]
	v_mul_lo_u32 v5, v11, s4
	v_sub_nc_u32_e32 v2, v73, v2
	v_lshrrev_b32_e32 v12, s52, v12
	v_add_nc_u32_e32 v9, v10, v9
	s_waitcnt lgkmcnt(0)
	v_mul_lo_u32 v35, s53, v66
	v_mul_lo_u32 v1, v2, s34
	v_sub_nc_u32_e32 v6, v6, v4
	v_sub_nc_u32_e32 v2, v7, v5
	v_lshrrev_b32_e32 v9, s57, v9
	v_sub_nc_u32_e32 v14, v12, v11
	s_delay_alu instid0(VALU_DEP_4) | instskip(NEXT) | instid1(VALU_DEP_4)
	v_mul_lo_u32 v76, v6, s42
	v_mad_u64_u32 v[4:5], null, v12, s4, v[2:3]
	s_delay_alu instid0(VALU_DEP_4)
	v_mul_hi_u32 v7, v9, s28
	v_mul_lo_u32 v5, v11, s2
	v_mul_lo_u32 v11, v10, s26
	;; [unrolled: 1-line block ×5, first 2 shown]
	v_sub_nc_u32_e32 v4, v8, v4
	v_mul_lo_u32 v8, v9, s25
	v_add_nc_u32_e32 v7, v9, v7
	s_sub_i32 s4, s55, s65
	s_sub_i32 s2, s15, s38
	s_mul_i32 s4, s4, s62
	v_sub_nc_u32_e32 v11, v74, v11
	s_add_i32 s2, s2, s4
	v_mul_lo_u32 v6, v75, s45
	v_sub_nc_u32_e32 v8, v10, v8
	v_mov_b32_e32 v10, 0
	v_lshrrev_b32_e32 v7, s56, v7
	v_mad_u64_u32 v[37:38], null, v11, s43, v[3:4]
	s_delay_alu instid0(VALU_DEP_4) | instskip(NEXT) | instid1(VALU_DEP_3)
	v_mad_u64_u32 v[43:44], null, v8, s11, v[2:3]
	v_mul_lo_u32 v12, v7, s24
	s_lshl_b32 s11, s2, 7
	v_mul_lo_u32 v77, v4, s10
	v_or_b32_e32 v78, s11, v64
	v_subrev_nc_u32_e32 v8, s23, v37
	v_mul_lo_u32 v7, v7, s44
	s_lshl_b32 s62, s8, 2
	s_lshl_b32 s38, s48, 2
	v_sub_nc_u32_e32 v2, v9, v12
	s_load_b32 s4, s[0:1], 0x74
	v_cmp_gt_i32_e64 s2, s7, v73
	v_cmp_le_i32_e64 s5, s23, v37
	v_cmp_gt_i32_e64 s7, s9, v78
	v_mad_u64_u32 v[45:46], null, v2, s3, v[5:6]
	v_mad_u64_u32 v[2:3], null, v78, s50, v[35:36]
	v_subrev_nc_u32_e32 v5, s20, v43
	s_lshl_b32 s3, s53, 2
	v_lshrrev_b32_e32 v46, 5, v0
	s_sub_i32 s15, s19, s21
	v_mov_b32_e32 v17, 0
	v_mov_b32_e32 v11, 0
	v_mad_u64_u32 v[3:4], null, v76, s47, v[1:2]
	v_mul_lo_u32 v1, v8, s47
	v_mul_lo_u32 v4, v5, s46
	v_subrev_nc_u32_e32 v5, s17, v45
	v_mul_lo_u32 v8, v77, s46
	v_lshlrev_b32_e32 v9, 2, v2
	v_add_lshl_u32 v2, v2, s3, 2
	s_waitcnt lgkmcnt(0)
	s_sub_i32 s10, s22, s4
	v_mul_lo_u32 v5, v5, s45
	v_cmp_gt_i32_e64 s6, s10, v37
	v_add3_u32 v1, v1, v13, v4
	s_clause 0x1
	buffer_load_b128 v[52:55], v9, s[60:63], 0 offen
	buffer_load_b128 v[56:59], v2, s[60:63], 0 offen
	v_add3_u32 v2, v3, v6, v8
	v_add_nc_u32_e32 v72, s3, v35
	v_cmp_gt_i32_e64 s3, s35, v35
	v_add3_u32 v1, v1, v7, v5
	s_and_b32 s18, s5, s6
	v_lshlrev_b32_e32 v6, 6, v46
	v_cmp_le_i32_e64 s5, s20, v43
	v_cmp_gt_i32_e64 s6, s15, v43
	v_lshlrev_b32_e32 v3, 2, v1
	v_add_lshl_u32 v1, v2, v1, 2
	s_clause 0x1
	buffer_load_b128 v[60:63], v3, s[36:39], 0 offen
	buffer_load_b128 v[68:71], v1, s[36:39], 0 offen
	v_add_nc_u32_e32 v35, v37, v76
	v_dual_mov_b32 v25, 0 :: v_dual_lshlrev_b32 v2, 1, v0
	v_mov_b32_e32 v15, 0
	v_add_nc_u32_e32 v37, v45, v75
	s_delay_alu instid0(VALU_DEP_4)
	v_cmp_le_i32_e64 s9, s23, v35
	v_cmp_gt_i32_e64 s10, s10, v35
	v_add_nc_u32_e32 v35, v43, v77
	v_and_b32_e32 v4, 0x1f8, v2
	v_and_b32_e32 v2, 0x1fc, v2
	v_lshlrev_b32_e32 v0, 2, v0
	s_and_b32 s9, s9, s10
	s_and_b32 s10, vcc_lo, s18
	s_and_b32 s18, s2, s9
	v_cmp_le_i32_e32 vcc_lo, s20, v35
	v_cmp_gt_i32_e64 s2, s15, v35
	v_sub_nc_u32_e32 v2, v2, v4
	v_sub_nc_u32_e32 v67, v4, v6
	s_and_b32 s9, s5, s6
	v_cmp_le_i32_e64 s5, s17, v45
	s_and_b32 s2, vcc_lo, s2
	s_and_b32 vcc_lo, s3, s7
	v_cmp_gt_i32_e64 s6, s16, v45
	v_lshl_add_u32 v65, v46, 3, v2
	s_and_b32 s15, s10, s9
	v_cmp_le_i32_e64 s9, s17, v37
	v_cmp_gt_i32_e64 s10, s16, v37
	v_and_or_b32 v64, v0, 4, v67
	v_cmp_gt_i32_e64 s8, s33, v74
	s_and_b32 s5, s5, s6
	v_dual_mov_b32 v1, 0 :: v_dual_mov_b32 v2, 0
	v_lshl_or_b32 v46, v66, 9, v79
	v_lshlrev_b32_e32 v66, 2, v65
	s_and_b32 s2, s18, s2
	s_and_b32 s5, s15, s5
	;; [unrolled: 1-line block ×3, first 2 shown]
	v_mov_b32_e32 v38, 0
	s_and_b32 s2, s2, s6
	v_mov_b32_e32 v36, 0
	v_dual_mov_b32 v8, 0 :: v_dual_mov_b32 v9, 0
	v_dual_mov_b32 v7, 0 :: v_dual_mov_b32 v44, 0
	;; [unrolled: 1-line block ×3, first 2 shown]
	v_mov_b32_e32 v14, 0
	v_dual_mov_b32 v12, 0 :: v_dual_mov_b32 v5, 0
	v_dual_mov_b32 v4, 0 :: v_dual_mov_b32 v3, 0
	v_mov_b32_e32 v0, 0
	s_mov_b32 s43, s39
	s_mov_b32 s15, s39
	s_waitcnt vmcnt(3)
	v_cndmask_b32_e32 v37, 0, v54, vcc_lo
	v_cmp_gt_i32_e64 s4, s35, v72
	v_cndmask_b32_e32 v35, 0, v55, vcc_lo
	v_cndmask_b32_e32 v43, 0, v53, vcc_lo
	v_cndmask_b32_e32 v45, 0, v52, vcc_lo
	s_delay_alu instid0(VALU_DEP_4)
	s_and_b32 vcc_lo, s4, s7
	s_waitcnt vmcnt(2)
	v_dual_cndmask_b32 v52, 0, v59 :: v_dual_lshlrev_b32 v67, 2, v64
	v_dual_cndmask_b32 v53, 0, v57 :: v_dual_cndmask_b32 v54, 0, v56
	v_cndmask_b32_e32 v55, 0, v58, vcc_lo
	s_and_b32 vcc_lo, s8, s5
	v_mov_b32_e32 v58, 0
	ds_store_2addr_stride64_b32 v46, v45, v43 offset0:64 offset1:66
	ds_store_2addr_stride64_b32 v46, v37, v35 offset0:68 offset1:70
	;; [unrolled: 1-line block ×3, first 2 shown]
	s_waitcnt vmcnt(1)
	v_cndmask_b32_e32 v35, 0, v63, vcc_lo
	v_cndmask_b32_e32 v37, 0, v62, vcc_lo
	;; [unrolled: 1-line block ×4, first 2 shown]
	s_and_b32 vcc_lo, s8, s2
	s_waitcnt vmcnt(0)
	v_dual_cndmask_b32 v53, 0, v71 :: v_dual_add_nc_u32 v64, s11, v64
	v_cndmask_b32_e32 v54, 0, v69, vcc_lo
	v_dual_cndmask_b32 v56, 0, v68 :: v_dual_cndmask_b32 v57, 0, v70
	s_delay_alu instid0(VALU_DEP_3)
	v_add_nc_u32_e32 v130, 64, v64
	ds_store_2addr_stride64_b32 v46, v55, v52 offset0:76 offset1:78
	ds_store_2addr_stride64_b32 v46, v45, v43 offset1:2
	ds_store_2addr_stride64_b32 v46, v37, v35 offset0:4 offset1:6
	ds_store_2addr_stride64_b32 v46, v56, v54 offset0:8 offset1:10
	;; [unrolled: 1-line block ×3, first 2 shown]
	s_waitcnt lgkmcnt(0)
	s_barrier
	buffer_gl0_inv
	ds_load_b128 v[68:71], v66
	ds_load_b128 v[72:75], v67 offset:16384
	v_mov_b32_e32 v35, 0
	v_dual_mov_b32 v37, 0 :: v_dual_mov_b32 v62, 0
	v_dual_mov_b32 v63, 0 :: v_dual_mov_b32 v60, 0
	v_mov_b32_e32 v61, 0
	v_dual_mov_b32 v59, 0 :: v_dual_mov_b32 v56, 0
	v_mov_b32_e32 v57, 0
	v_dual_mov_b32 v55, 0 :: v_dual_mov_b32 v54, 0
	v_dual_mov_b32 v52, 0 :: v_dual_mov_b32 v53, 0
	v_mov_b32_e32 v43, 0
	ds_load_b128 v[76:79], v67 offset:16640
	ds_load_b128 v[80:83], v66 offset:256
	v_dual_mov_b32 v45, 0 :: v_dual_mov_b32 v46, 0
	s_waitcnt lgkmcnt(2)
	;;#ASMSTART
	
             v_fmac_f32 v40, v68, v72 
             
	;;#ASMEND
	;;#ASMSTART
	
             v_fmac_f32 v38, v68, v73 
             
	;;#ASMEND
	;; [unrolled: 5-line block ×16, first 2 shown]
	s_waitcnt lgkmcnt(1)
	;;#ASMSTART
	
             v_fmac_f32 v51, v68, v76 
             
	;;#ASMEND
	;;#ASMSTART
	
             v_fmac_f32 v50, v68, v77 
             
	;;#ASMEND
	;; [unrolled: 5-line block ×16, first 2 shown]
	ds_load_b128 v[68:71], v66 offset:512
	s_waitcnt lgkmcnt(1)
	;;#ASMSTART
	
             v_fmac_f32 v24, v80, v72 
             
	;;#ASMEND
	;;#ASMSTART
	
             v_fmac_f32 v26, v80, v73 
             
	;;#ASMEND
	;;#ASMSTART
	
             v_fmac_f32 v22, v80, v74 
             
	;;#ASMEND
	;;#ASMSTART
	
             v_fmac_f32 v17, v80, v75 
             
	;;#ASMEND
	;;#ASMSTART
	
             v_fmac_f32 v11, v81, v72 
             
	;;#ASMEND
	;;#ASMSTART
	
             v_fmac_f32 v13, v81, v73 
             
	;;#ASMEND
	;;#ASMSTART
	
             v_fmac_f32 v14, v81, v74 
             
	;;#ASMEND
	;;#ASMSTART
	
             v_fmac_f32 v12, v81, v75 
             
	;;#ASMEND
	;;#ASMSTART
	
             v_fmac_f32 v5, v82, v72 
             
	;;#ASMEND
	;;#ASMSTART
	
             v_fmac_f32 v3, v82, v73 
             
	;;#ASMEND
	;;#ASMSTART
	
             v_fmac_f32 v6, v82, v74 
             
	;;#ASMEND
	;;#ASMSTART
	
             v_fmac_f32 v4, v82, v75 
             
	;;#ASMEND
	;;#ASMSTART
	
             v_fmac_f32 v0, v83, v72 
             
	;;#ASMEND
	;;#ASMSTART
	
             v_fmac_f32 v2, v83, v73 
             
	;;#ASMEND
	;;#ASMSTART
	
             v_fmac_f32 v35, v83, v74 
             
	;;#ASMEND
	;;#ASMSTART
	
             v_fmac_f32 v37, v83, v75 
             
	;;#ASMEND
	ds_load_b128 v[72:75], v67 offset:16896
	;;#ASMSTART
	
             v_fmac_f32 v62, v80, v76 
             
	;;#ASMEND
	;;#ASMSTART
	
             v_fmac_f32 v63, v80, v77 
             
	;;#ASMEND
	;; [unrolled: 5-line block ×16, first 2 shown]
	ds_load_b128 v[76:79], v67 offset:17152
	ds_load_b128 v[80:83], v66 offset:768
	s_waitcnt lgkmcnt(2)
	;;#ASMSTART
	
             v_fmac_f32 v40, v68, v72 
             
	;;#ASMEND
	;;#ASMSTART
	
             v_fmac_f32 v38, v68, v73 
             
	;;#ASMEND
	;; [unrolled: 5-line block ×16, first 2 shown]
	s_waitcnt lgkmcnt(1)
	;;#ASMSTART
	
             v_fmac_f32 v51, v68, v76 
             
	;;#ASMEND
	;;#ASMSTART
	
             v_fmac_f32 v50, v68, v77 
             
	;;#ASMEND
	;; [unrolled: 5-line block ×16, first 2 shown]
	ds_load_b128 v[68:71], v66 offset:1024
	s_waitcnt lgkmcnt(1)
	;;#ASMSTART
	
             v_fmac_f32 v24, v80, v72 
             
	;;#ASMEND
	;;#ASMSTART
	
             v_fmac_f32 v26, v80, v73 
             
	;;#ASMEND
	;;#ASMSTART
	
             v_fmac_f32 v22, v80, v74 
             
	;;#ASMEND
	;;#ASMSTART
	
             v_fmac_f32 v17, v80, v75 
             
	;;#ASMEND
	;;#ASMSTART
	
             v_fmac_f32 v11, v81, v72 
             
	;;#ASMEND
	;;#ASMSTART
	
             v_fmac_f32 v13, v81, v73 
             
	;;#ASMEND
	;;#ASMSTART
	
             v_fmac_f32 v14, v81, v74 
             
	;;#ASMEND
	;;#ASMSTART
	
             v_fmac_f32 v12, v81, v75 
             
	;;#ASMEND
	;;#ASMSTART
	
             v_fmac_f32 v5, v82, v72 
             
	;;#ASMEND
	;;#ASMSTART
	
             v_fmac_f32 v3, v82, v73 
             
	;;#ASMEND
	;;#ASMSTART
	
             v_fmac_f32 v6, v82, v74 
             
	;;#ASMEND
	;;#ASMSTART
	
             v_fmac_f32 v4, v82, v75 
             
	;;#ASMEND
	;;#ASMSTART
	
             v_fmac_f32 v0, v83, v72 
             
	;;#ASMEND
	;;#ASMSTART
	
             v_fmac_f32 v2, v83, v73 
             
	;;#ASMEND
	;;#ASMSTART
	
             v_fmac_f32 v35, v83, v74 
             
	;;#ASMEND
	;;#ASMSTART
	
             v_fmac_f32 v37, v83, v75 
             
	;;#ASMEND
	ds_load_b128 v[72:75], v67 offset:17408
	;;#ASMSTART
	
             v_fmac_f32 v62, v80, v76 
             
	;;#ASMEND
	;;#ASMSTART
	
             v_fmac_f32 v63, v80, v77 
             
	;;#ASMEND
	;; [unrolled: 5-line block ×16, first 2 shown]
	ds_load_b128 v[76:79], v67 offset:17664
	ds_load_b128 v[80:83], v66 offset:1280
	s_waitcnt lgkmcnt(2)
	;;#ASMSTART
	
             v_fmac_f32 v40, v68, v72 
             
	;;#ASMEND
	;;#ASMSTART
	
             v_fmac_f32 v38, v68, v73 
             
	;;#ASMEND
	;; [unrolled: 5-line block ×16, first 2 shown]
	s_waitcnt lgkmcnt(1)
	;;#ASMSTART
	
             v_fmac_f32 v51, v68, v76 
             
	;;#ASMEND
	;;#ASMSTART
	
             v_fmac_f32 v50, v68, v77 
             
	;;#ASMEND
	;; [unrolled: 5-line block ×16, first 2 shown]
	ds_load_b128 v[68:71], v66 offset:1536
	s_waitcnt lgkmcnt(1)
	;;#ASMSTART
	
             v_fmac_f32 v24, v80, v72 
             
	;;#ASMEND
	;;#ASMSTART
	
             v_fmac_f32 v26, v80, v73 
             
	;;#ASMEND
	;;#ASMSTART
	
             v_fmac_f32 v22, v80, v74 
             
	;;#ASMEND
	;;#ASMSTART
	
             v_fmac_f32 v17, v80, v75 
             
	;;#ASMEND
	;;#ASMSTART
	
             v_fmac_f32 v11, v81, v72 
             
	;;#ASMEND
	;;#ASMSTART
	
             v_fmac_f32 v13, v81, v73 
             
	;;#ASMEND
	;;#ASMSTART
	
             v_fmac_f32 v14, v81, v74 
             
	;;#ASMEND
	;;#ASMSTART
	
             v_fmac_f32 v12, v81, v75 
             
	;;#ASMEND
	;;#ASMSTART
	
             v_fmac_f32 v5, v82, v72 
             
	;;#ASMEND
	;;#ASMSTART
	
             v_fmac_f32 v3, v82, v73 
             
	;;#ASMEND
	;;#ASMSTART
	
             v_fmac_f32 v6, v82, v74 
             
	;;#ASMEND
	;;#ASMSTART
	
             v_fmac_f32 v4, v82, v75 
             
	;;#ASMEND
	;;#ASMSTART
	
             v_fmac_f32 v0, v83, v72 
             
	;;#ASMEND
	;;#ASMSTART
	
             v_fmac_f32 v2, v83, v73 
             
	;;#ASMEND
	;;#ASMSTART
	
             v_fmac_f32 v35, v83, v74 
             
	;;#ASMEND
	;;#ASMSTART
	
             v_fmac_f32 v37, v83, v75 
             
	;;#ASMEND
	ds_load_b128 v[72:75], v67 offset:17920
	;;#ASMSTART
	
             v_fmac_f32 v62, v80, v76 
             
	;;#ASMEND
	;;#ASMSTART
	
             v_fmac_f32 v63, v80, v77 
             
	;;#ASMEND
	;; [unrolled: 5-line block ×16, first 2 shown]
	ds_load_b128 v[76:79], v67 offset:18176
	ds_load_b128 v[80:83], v66 offset:1792
	s_waitcnt lgkmcnt(2)
	;;#ASMSTART
	
             v_fmac_f32 v40, v68, v72 
             
	;;#ASMEND
	;;#ASMSTART
	
             v_fmac_f32 v38, v68, v73 
             
	;;#ASMEND
	;; [unrolled: 5-line block ×16, first 2 shown]
	s_waitcnt lgkmcnt(1)
	;;#ASMSTART
	
             v_fmac_f32 v51, v68, v76 
             
	;;#ASMEND
	;;#ASMSTART
	
             v_fmac_f32 v50, v68, v77 
             
	;;#ASMEND
	;; [unrolled: 5-line block ×16, first 2 shown]
	ds_load_b128 v[68:71], v66 offset:2048
	s_waitcnt lgkmcnt(1)
	;;#ASMSTART
	
             v_fmac_f32 v24, v80, v72 
             
	;;#ASMEND
	;;#ASMSTART
	
             v_fmac_f32 v26, v80, v73 
             
	;;#ASMEND
	;; [unrolled: 5-line block ×16, first 2 shown]
	ds_load_b128 v[72:75], v67 offset:18432
	;;#ASMSTART
	
             v_fmac_f32 v62, v80, v76 
             
	;;#ASMEND
	;;#ASMSTART
	
             v_fmac_f32 v63, v80, v77 
             
	;;#ASMEND
	;; [unrolled: 5-line block ×16, first 2 shown]
	ds_load_b128 v[76:79], v67 offset:18688
	ds_load_b128 v[80:83], v66 offset:2304
	s_waitcnt lgkmcnt(2)
	;;#ASMSTART
	
             v_fmac_f32 v40, v68, v72 
             
	;;#ASMEND
	;;#ASMSTART
	
             v_fmac_f32 v38, v68, v73 
             
	;;#ASMEND
	;; [unrolled: 5-line block ×16, first 2 shown]
	s_waitcnt lgkmcnt(1)
	;;#ASMSTART
	
             v_fmac_f32 v51, v68, v76 
             
	;;#ASMEND
	;;#ASMSTART
	
             v_fmac_f32 v50, v68, v77 
             
	;;#ASMEND
	;; [unrolled: 5-line block ×16, first 2 shown]
	ds_load_b128 v[68:71], v66 offset:2560
	s_waitcnt lgkmcnt(1)
	;;#ASMSTART
	
             v_fmac_f32 v24, v80, v72 
             
	;;#ASMEND
	;;#ASMSTART
	
             v_fmac_f32 v26, v80, v73 
             
	;;#ASMEND
	;; [unrolled: 5-line block ×16, first 2 shown]
	ds_load_b128 v[72:75], v67 offset:18944
	;;#ASMSTART
	
             v_fmac_f32 v62, v80, v76 
             
	;;#ASMEND
	;;#ASMSTART
	
             v_fmac_f32 v63, v80, v77 
             
	;;#ASMEND
	;; [unrolled: 5-line block ×16, first 2 shown]
	ds_load_b128 v[76:79], v67 offset:19200
	ds_load_b128 v[80:83], v66 offset:2816
	s_waitcnt lgkmcnt(2)
	;;#ASMSTART
	
             v_fmac_f32 v40, v68, v72 
             
	;;#ASMEND
	;;#ASMSTART
	
             v_fmac_f32 v38, v68, v73 
             
	;;#ASMEND
	;; [unrolled: 5-line block ×16, first 2 shown]
	s_waitcnt lgkmcnt(1)
	;;#ASMSTART
	
             v_fmac_f32 v51, v68, v76 
             
	;;#ASMEND
	;;#ASMSTART
	
             v_fmac_f32 v50, v68, v77 
             
	;;#ASMEND
	;;#ASMSTART
	
             v_fmac_f32 v48, v68, v78 
             
	;;#ASMEND
	;;#ASMSTART
	
             v_fmac_f32 v49, v68, v79 
             
	;;#ASMEND
	;;#ASMSTART
	
             v_fmac_f32 v44, v69, v76 
             
	;;#ASMEND
	;;#ASMSTART
	
             v_fmac_f32 v47, v69, v77 
             
	;;#ASMEND
	;;#ASMSTART
	
             v_fmac_f32 v41, v69, v78 
             
	;;#ASMEND
	;;#ASMSTART
	
             v_fmac_f32 v42, v69, v79 
             
	;;#ASMEND
	;;#ASMSTART
	
             v_fmac_f32 v33, v70, v76 
             
	;;#ASMEND
	;;#ASMSTART
	
             v_fmac_f32 v34, v70, v77 
             
	;;#ASMEND
	;;#ASMSTART
	
             v_fmac_f32 v30, v70, v78 
             
	;;#ASMEND
	;;#ASMSTART
	
             v_fmac_f32 v31, v70, v79 
             
	;;#ASMEND
	;;#ASMSTART
	
             v_fmac_f32 v25, v71, v76 
             
	;;#ASMEND
	;;#ASMSTART
	
             v_fmac_f32 v20, v71, v77 
             
	;;#ASMEND
	;;#ASMSTART
	
             v_fmac_f32 v15, v71, v78 
             
	;;#ASMEND
	;;#ASMSTART
	
             v_fmac_f32 v16, v71, v79 
             
	;;#ASMEND
	ds_load_b128 v[68:71], v66 offset:3072
	s_waitcnt lgkmcnt(1)
	;;#ASMSTART
	
             v_fmac_f32 v24, v80, v72 
             
	;;#ASMEND
	;;#ASMSTART
	
             v_fmac_f32 v26, v80, v73 
             
	;;#ASMEND
	;; [unrolled: 5-line block ×16, first 2 shown]
	ds_load_b128 v[72:75], v67 offset:19456
	;;#ASMSTART
	
             v_fmac_f32 v62, v80, v76 
             
	;;#ASMEND
	;;#ASMSTART
	
             v_fmac_f32 v63, v80, v77 
             
	;;#ASMEND
	;; [unrolled: 5-line block ×16, first 2 shown]
	ds_load_b128 v[76:79], v67 offset:19712
	ds_load_b128 v[80:83], v66 offset:3328
	s_waitcnt lgkmcnt(2)
	;;#ASMSTART
	
             v_fmac_f32 v40, v68, v72 
             
	;;#ASMEND
	;;#ASMSTART
	
             v_fmac_f32 v38, v68, v73 
             
	;;#ASMEND
	;; [unrolled: 5-line block ×16, first 2 shown]
	s_waitcnt lgkmcnt(1)
	;;#ASMSTART
	
             v_fmac_f32 v51, v68, v76 
             
	;;#ASMEND
	;;#ASMSTART
	
             v_fmac_f32 v50, v68, v77 
             
	;;#ASMEND
	;;#ASMSTART
	
             v_fmac_f32 v48, v68, v78 
             
	;;#ASMEND
	;;#ASMSTART
	
             v_fmac_f32 v49, v68, v79 
             
	;;#ASMEND
	;;#ASMSTART
	
             v_fmac_f32 v44, v69, v76 
             
	;;#ASMEND
	;;#ASMSTART
	
             v_fmac_f32 v47, v69, v77 
             
	;;#ASMEND
	;;#ASMSTART
	
             v_fmac_f32 v41, v69, v78 
             
	;;#ASMEND
	;;#ASMSTART
	
             v_fmac_f32 v42, v69, v79 
             
	;;#ASMEND
	;;#ASMSTART
	
             v_fmac_f32 v33, v70, v76 
             
	;;#ASMEND
	;;#ASMSTART
	
             v_fmac_f32 v34, v70, v77 
             
	;;#ASMEND
	;;#ASMSTART
	
             v_fmac_f32 v30, v70, v78 
             
	;;#ASMEND
	;;#ASMSTART
	
             v_fmac_f32 v31, v70, v79 
             
	;;#ASMEND
	;;#ASMSTART
	
             v_fmac_f32 v25, v71, v76 
             
	;;#ASMEND
	;;#ASMSTART
	
             v_fmac_f32 v20, v71, v77 
             
	;;#ASMEND
	;;#ASMSTART
	
             v_fmac_f32 v15, v71, v78 
             
	;;#ASMEND
	;;#ASMSTART
	
             v_fmac_f32 v16, v71, v79 
             
	;;#ASMEND
	ds_load_b128 v[68:71], v66 offset:3584
	s_waitcnt lgkmcnt(1)
	;;#ASMSTART
	
             v_fmac_f32 v24, v80, v72 
             
	;;#ASMEND
	;;#ASMSTART
	
             v_fmac_f32 v26, v80, v73 
             
	;;#ASMEND
	;; [unrolled: 5-line block ×16, first 2 shown]
	ds_load_b128 v[72:75], v67 offset:19968
	;;#ASMSTART
	
             v_fmac_f32 v62, v80, v76 
             
	;;#ASMEND
	;;#ASMSTART
	
             v_fmac_f32 v63, v80, v77 
             
	;;#ASMEND
	;; [unrolled: 5-line block ×16, first 2 shown]
	ds_load_b128 v[76:79], v67 offset:20224
	ds_load_b128 v[80:83], v66 offset:3840
	s_waitcnt lgkmcnt(2)
	;;#ASMSTART
	
             v_fmac_f32 v40, v68, v72 
             
	;;#ASMEND
	;;#ASMSTART
	
             v_fmac_f32 v38, v68, v73 
             
	;;#ASMEND
	;; [unrolled: 5-line block ×16, first 2 shown]
	s_waitcnt lgkmcnt(1)
	;;#ASMSTART
	
             v_fmac_f32 v51, v68, v76 
             
	;;#ASMEND
	;;#ASMSTART
	
             v_fmac_f32 v50, v68, v77 
             
	;;#ASMEND
	;;#ASMSTART
	
             v_fmac_f32 v48, v68, v78 
             
	;;#ASMEND
	;;#ASMSTART
	
             v_fmac_f32 v49, v68, v79 
             
	;;#ASMEND
	;;#ASMSTART
	
             v_fmac_f32 v44, v69, v76 
             
	;;#ASMEND
	;;#ASMSTART
	
             v_fmac_f32 v47, v69, v77 
             
	;;#ASMEND
	;;#ASMSTART
	
             v_fmac_f32 v41, v69, v78 
             
	;;#ASMEND
	;;#ASMSTART
	
             v_fmac_f32 v42, v69, v79 
             
	;;#ASMEND
	;;#ASMSTART
	
             v_fmac_f32 v33, v70, v76 
             
	;;#ASMEND
	;;#ASMSTART
	
             v_fmac_f32 v34, v70, v77 
             
	;;#ASMEND
	;;#ASMSTART
	
             v_fmac_f32 v30, v70, v78 
             
	;;#ASMEND
	;;#ASMSTART
	
             v_fmac_f32 v31, v70, v79 
             
	;;#ASMEND
	;;#ASMSTART
	
             v_fmac_f32 v25, v71, v76 
             
	;;#ASMEND
	;;#ASMSTART
	
             v_fmac_f32 v20, v71, v77 
             
	;;#ASMEND
	;;#ASMSTART
	
             v_fmac_f32 v15, v71, v78 
             
	;;#ASMEND
	;;#ASMSTART
	
             v_fmac_f32 v16, v71, v79 
             
	;;#ASMEND
	ds_load_b128 v[68:71], v66 offset:4096
	s_waitcnt lgkmcnt(1)
	;;#ASMSTART
	
             v_fmac_f32 v24, v80, v72 
             
	;;#ASMEND
	;;#ASMSTART
	
             v_fmac_f32 v26, v80, v73 
             
	;;#ASMEND
	;;#ASMSTART
	
             v_fmac_f32 v22, v80, v74 
             
	;;#ASMEND
	;;#ASMSTART
	
             v_fmac_f32 v17, v80, v75 
             
	;;#ASMEND
	;;#ASMSTART
	
             v_fmac_f32 v11, v81, v72 
             
	;;#ASMEND
	;;#ASMSTART
	
             v_fmac_f32 v13, v81, v73 
             
	;;#ASMEND
	;;#ASMSTART
	
             v_fmac_f32 v14, v81, v74 
             
	;;#ASMEND
	;;#ASMSTART
	
             v_fmac_f32 v12, v81, v75 
             
	;;#ASMEND
	;;#ASMSTART
	
             v_fmac_f32 v5, v82, v72 
             
	;;#ASMEND
	;;#ASMSTART
	
             v_fmac_f32 v3, v82, v73 
             
	;;#ASMEND
	;;#ASMSTART
	
             v_fmac_f32 v6, v82, v74 
             
	;;#ASMEND
	;;#ASMSTART
	
             v_fmac_f32 v4, v82, v75 
             
	;;#ASMEND
	;;#ASMSTART
	
             v_fmac_f32 v0, v83, v72 
             
	;;#ASMEND
	;;#ASMSTART
	
             v_fmac_f32 v2, v83, v73 
             
	;;#ASMEND
	;;#ASMSTART
	
             v_fmac_f32 v35, v83, v74 
             
	;;#ASMEND
	;;#ASMSTART
	
             v_fmac_f32 v37, v83, v75 
             
	;;#ASMEND
	ds_load_b128 v[72:75], v67 offset:20480
	;;#ASMSTART
	
             v_fmac_f32 v62, v80, v76 
             
	;;#ASMEND
	;;#ASMSTART
	
             v_fmac_f32 v63, v80, v77 
             
	;;#ASMEND
	;;#ASMSTART
	
             v_fmac_f32 v60, v80, v78 
             
	;;#ASMEND
	;;#ASMSTART
	
             v_fmac_f32 v61, v80, v79 
             
	;;#ASMEND
	;;#ASMSTART
	
             v_fmac_f32 v58, v81, v76 
             
	;;#ASMEND
	;;#ASMSTART
	
             v_fmac_f32 v59, v81, v77 
             
	;;#ASMEND
	;;#ASMSTART
	
             v_fmac_f32 v56, v81, v78 
             
	;;#ASMEND
	;;#ASMSTART
	
             v_fmac_f32 v57, v81, v79 
             
	;;#ASMEND
	;;#ASMSTART
	
             v_fmac_f32 v55, v82, v76 
             
	;;#ASMEND
	;;#ASMSTART
	
             v_fmac_f32 v54, v82, v77 
             
	;;#ASMEND
	;;#ASMSTART
	
             v_fmac_f32 v52, v82, v78 
             
	;;#ASMEND
	;;#ASMSTART
	
             v_fmac_f32 v53, v82, v79 
             
	;;#ASMEND
	;;#ASMSTART
	
             v_fmac_f32 v43, v83, v76 
             
	;;#ASMEND
	;;#ASMSTART
	
             v_fmac_f32 v45, v83, v77 
             
	;;#ASMEND
	;;#ASMSTART
	
             v_fmac_f32 v46, v83, v78 
             
	;;#ASMEND
	;;#ASMSTART
	
             v_fmac_f32 v1, v83, v79 
             
	;;#ASMEND
	ds_load_b128 v[76:79], v67 offset:20736
	ds_load_b128 v[80:83], v66 offset:4352
	s_waitcnt lgkmcnt(2)
	;;#ASMSTART
	
             v_fmac_f32 v40, v68, v72 
             
	;;#ASMEND
	;;#ASMSTART
	
             v_fmac_f32 v38, v68, v73 
             
	;;#ASMEND
	;; [unrolled: 5-line block ×16, first 2 shown]
	s_waitcnt lgkmcnt(1)
	;;#ASMSTART
	
             v_fmac_f32 v51, v68, v76 
             
	;;#ASMEND
	;;#ASMSTART
	
             v_fmac_f32 v50, v68, v77 
             
	;;#ASMEND
	;; [unrolled: 5-line block ×16, first 2 shown]
	ds_load_b128 v[68:71], v66 offset:4608
	s_waitcnt lgkmcnt(1)
	;;#ASMSTART
	
             v_fmac_f32 v24, v80, v72 
             
	;;#ASMEND
	;;#ASMSTART
	
             v_fmac_f32 v26, v80, v73 
             
	;;#ASMEND
	;; [unrolled: 5-line block ×16, first 2 shown]
	ds_load_b128 v[72:75], v67 offset:20992
	;;#ASMSTART
	
             v_fmac_f32 v62, v80, v76 
             
	;;#ASMEND
	;;#ASMSTART
	
             v_fmac_f32 v63, v80, v77 
             
	;;#ASMEND
	;; [unrolled: 5-line block ×16, first 2 shown]
	ds_load_b128 v[76:79], v67 offset:21248
	ds_load_b128 v[80:83], v66 offset:4864
	s_waitcnt lgkmcnt(2)
	;;#ASMSTART
	
             v_fmac_f32 v40, v68, v72 
             
	;;#ASMEND
	;;#ASMSTART
	
             v_fmac_f32 v38, v68, v73 
             
	;;#ASMEND
	;; [unrolled: 5-line block ×16, first 2 shown]
	s_waitcnt lgkmcnt(1)
	;;#ASMSTART
	
             v_fmac_f32 v51, v68, v76 
             
	;;#ASMEND
	;;#ASMSTART
	
             v_fmac_f32 v50, v68, v77 
             
	;;#ASMEND
	;; [unrolled: 5-line block ×16, first 2 shown]
	ds_load_b128 v[68:71], v66 offset:5120
	s_waitcnt lgkmcnt(1)
	;;#ASMSTART
	
             v_fmac_f32 v24, v80, v72 
             
	;;#ASMEND
	;;#ASMSTART
	
             v_fmac_f32 v26, v80, v73 
             
	;;#ASMEND
	;; [unrolled: 5-line block ×16, first 2 shown]
	ds_load_b128 v[72:75], v67 offset:21504
	;;#ASMSTART
	
             v_fmac_f32 v62, v80, v76 
             
	;;#ASMEND
	;;#ASMSTART
	
             v_fmac_f32 v63, v80, v77 
             
	;;#ASMEND
	;; [unrolled: 5-line block ×16, first 2 shown]
	ds_load_b128 v[76:79], v67 offset:21760
	ds_load_b128 v[80:83], v66 offset:5376
	s_waitcnt lgkmcnt(2)
	;;#ASMSTART
	
             v_fmac_f32 v40, v68, v72 
             
	;;#ASMEND
	;;#ASMSTART
	
             v_fmac_f32 v38, v68, v73 
             
	;;#ASMEND
	;; [unrolled: 5-line block ×16, first 2 shown]
	s_waitcnt lgkmcnt(1)
	;;#ASMSTART
	
             v_fmac_f32 v51, v68, v76 
             
	;;#ASMEND
	;;#ASMSTART
	
             v_fmac_f32 v50, v68, v77 
             
	;;#ASMEND
	;; [unrolled: 5-line block ×16, first 2 shown]
	ds_load_b128 v[68:71], v66 offset:5632
	s_waitcnt lgkmcnt(1)
	;;#ASMSTART
	
             v_fmac_f32 v24, v80, v72 
             
	;;#ASMEND
	;;#ASMSTART
	
             v_fmac_f32 v26, v80, v73 
             
	;;#ASMEND
	;; [unrolled: 5-line block ×16, first 2 shown]
	ds_load_b128 v[72:75], v67 offset:22016
	;;#ASMSTART
	
             v_fmac_f32 v62, v80, v76 
             
	;;#ASMEND
	;;#ASMSTART
	
             v_fmac_f32 v63, v80, v77 
             
	;;#ASMEND
	;; [unrolled: 5-line block ×16, first 2 shown]
	ds_load_b128 v[76:79], v67 offset:22272
	ds_load_b128 v[80:83], v66 offset:5888
	s_waitcnt lgkmcnt(2)
	;;#ASMSTART
	
             v_fmac_f32 v40, v68, v72 
             
	;;#ASMEND
	;;#ASMSTART
	
             v_fmac_f32 v38, v68, v73 
             
	;;#ASMEND
	;; [unrolled: 5-line block ×16, first 2 shown]
	s_waitcnt lgkmcnt(1)
	;;#ASMSTART
	
             v_fmac_f32 v51, v68, v76 
             
	;;#ASMEND
	;;#ASMSTART
	
             v_fmac_f32 v50, v68, v77 
             
	;;#ASMEND
	;; [unrolled: 5-line block ×16, first 2 shown]
	ds_load_b128 v[68:71], v66 offset:6144
	s_waitcnt lgkmcnt(1)
	;;#ASMSTART
	
             v_fmac_f32 v24, v80, v72 
             
	;;#ASMEND
	;;#ASMSTART
	
             v_fmac_f32 v26, v80, v73 
             
	;;#ASMEND
	;; [unrolled: 5-line block ×16, first 2 shown]
	ds_load_b128 v[72:75], v67 offset:22528
	;;#ASMSTART
	
             v_fmac_f32 v62, v80, v76 
             
	;;#ASMEND
	;;#ASMSTART
	
             v_fmac_f32 v63, v80, v77 
             
	;;#ASMEND
	;; [unrolled: 5-line block ×16, first 2 shown]
	ds_load_b128 v[76:79], v67 offset:22784
	ds_load_b128 v[80:83], v66 offset:6400
	s_waitcnt lgkmcnt(2)
	;;#ASMSTART
	
             v_fmac_f32 v40, v68, v72 
             
	;;#ASMEND
	;;#ASMSTART
	
             v_fmac_f32 v38, v68, v73 
             
	;;#ASMEND
	;;#ASMSTART
	
             v_fmac_f32 v39, v68, v74 
             
	;;#ASMEND
	;;#ASMSTART
	
             v_fmac_f32 v36, v68, v75 
             
	;;#ASMEND
	;;#ASMSTART
	
             v_fmac_f32 v28, v69, v72 
             
	;;#ASMEND
	;;#ASMSTART
	
             v_fmac_f32 v32, v69, v73 
             
	;;#ASMEND
	;;#ASMSTART
	
             v_fmac_f32 v29, v69, v74 
             
	;;#ASMEND
	;;#ASMSTART
	
             v_fmac_f32 v27, v69, v75 
             
	;;#ASMEND
	;;#ASMSTART
	
             v_fmac_f32 v19, v70, v72 
             
	;;#ASMEND
	;;#ASMSTART
	
             v_fmac_f32 v21, v70, v73 
             
	;;#ASMEND
	;;#ASMSTART
	
             v_fmac_f32 v23, v70, v74 
             
	;;#ASMEND
	;;#ASMSTART
	
             v_fmac_f32 v18, v70, v75 
             
	;;#ASMEND
	;;#ASMSTART
	
             v_fmac_f32 v10, v71, v72 
             
	;;#ASMEND
	;;#ASMSTART
	
             v_fmac_f32 v8, v71, v73 
             
	;;#ASMEND
	;;#ASMSTART
	
             v_fmac_f32 v9, v71, v74 
             
	;;#ASMEND
	;;#ASMSTART
	
             v_fmac_f32 v7, v71, v75 
             
	;;#ASMEND
	s_waitcnt lgkmcnt(1)
	;;#ASMSTART
	
             v_fmac_f32 v51, v68, v76 
             
	;;#ASMEND
	;;#ASMSTART
	
             v_fmac_f32 v50, v68, v77 
             
	;;#ASMEND
	;; [unrolled: 5-line block ×16, first 2 shown]
	ds_load_b128 v[68:71], v66 offset:6656
	s_waitcnt lgkmcnt(1)
	;;#ASMSTART
	
             v_fmac_f32 v24, v80, v72 
             
	;;#ASMEND
	;;#ASMSTART
	
             v_fmac_f32 v26, v80, v73 
             
	;;#ASMEND
	;; [unrolled: 5-line block ×16, first 2 shown]
	ds_load_b128 v[72:75], v67 offset:23040
	;;#ASMSTART
	
             v_fmac_f32 v62, v80, v76 
             
	;;#ASMEND
	;;#ASMSTART
	
             v_fmac_f32 v63, v80, v77 
             
	;;#ASMEND
	;; [unrolled: 5-line block ×16, first 2 shown]
	ds_load_b128 v[76:79], v67 offset:23296
	ds_load_b128 v[80:83], v66 offset:6912
	s_waitcnt lgkmcnt(2)
	;;#ASMSTART
	
             v_fmac_f32 v40, v68, v72 
             
	;;#ASMEND
	;;#ASMSTART
	
             v_fmac_f32 v38, v68, v73 
             
	;;#ASMEND
	;; [unrolled: 5-line block ×16, first 2 shown]
	s_waitcnt lgkmcnt(1)
	;;#ASMSTART
	
             v_fmac_f32 v51, v68, v76 
             
	;;#ASMEND
	;;#ASMSTART
	
             v_fmac_f32 v50, v68, v77 
             
	;;#ASMEND
	;; [unrolled: 5-line block ×16, first 2 shown]
	ds_load_b128 v[68:71], v66 offset:7168
	s_waitcnt lgkmcnt(1)
	;;#ASMSTART
	
             v_fmac_f32 v24, v80, v72 
             
	;;#ASMEND
	;;#ASMSTART
	
             v_fmac_f32 v26, v80, v73 
             
	;;#ASMEND
	;; [unrolled: 5-line block ×16, first 2 shown]
	ds_load_b128 v[72:75], v67 offset:23552
	;;#ASMSTART
	
             v_fmac_f32 v62, v80, v76 
             
	;;#ASMEND
	;;#ASMSTART
	
             v_fmac_f32 v63, v80, v77 
             
	;;#ASMEND
	;; [unrolled: 5-line block ×16, first 2 shown]
	ds_load_b128 v[76:79], v67 offset:23808
	ds_load_b128 v[80:83], v66 offset:7424
	s_waitcnt lgkmcnt(2)
	;;#ASMSTART
	
             v_fmac_f32 v40, v68, v72 
             
	;;#ASMEND
	;;#ASMSTART
	
             v_fmac_f32 v38, v68, v73 
             
	;;#ASMEND
	;; [unrolled: 5-line block ×16, first 2 shown]
	s_waitcnt lgkmcnt(1)
	;;#ASMSTART
	
             v_fmac_f32 v51, v68, v76 
             
	;;#ASMEND
	;;#ASMSTART
	
             v_fmac_f32 v50, v68, v77 
             
	;;#ASMEND
	;; [unrolled: 5-line block ×16, first 2 shown]
	ds_load_b128 v[68:71], v66 offset:7680
	s_waitcnt lgkmcnt(1)
	;;#ASMSTART
	
             v_fmac_f32 v24, v80, v72 
             
	;;#ASMEND
	;;#ASMSTART
	
             v_fmac_f32 v26, v80, v73 
             
	;;#ASMEND
	;; [unrolled: 5-line block ×16, first 2 shown]
	ds_load_b128 v[72:75], v67 offset:24064
	;;#ASMSTART
	
             v_fmac_f32 v62, v80, v76 
             
	;;#ASMEND
	;;#ASMSTART
	
             v_fmac_f32 v63, v80, v77 
             
	;;#ASMEND
	;; [unrolled: 5-line block ×16, first 2 shown]
	ds_load_b128 v[76:79], v67 offset:24320
	s_clause 0x4
	s_load_b32 s2, s[0:1], 0x210
	s_load_b64 s[4:5], s[0:1], 0x220
	s_load_b32 s3, s[0:1], 0x22c
	s_load_b32 s7, s[0:1], 0x238
	;; [unrolled: 1-line block ×3, first 2 shown]
	ds_load_b128 v[80:83], v66 offset:7936
	s_waitcnt lgkmcnt(0)
	;;#ASMSTART
	
             v_fmac_f32 v40, v68, v72 
             
	;;#ASMEND
	v_add_nc_u32_e32 v65, s27, v65
	;;#ASMSTART
	
             v_fmac_f32 v38, v68, v73 
             
	;;#ASMEND
	;;#ASMSTART
	
             v_fmac_f32 v39, v68, v74 
             
	;;#ASMEND
	;; [unrolled: 5-line block ×4, first 2 shown]
	v_mul_lo_u32 v66, v65, s30
	;;#ASMSTART
	
             v_fmac_f32 v32, v69, v73 
             
	;;#ASMEND
	;;#ASMSTART
	
             v_fmac_f32 v29, v69, v74 
             
	;;#ASMEND
	;; [unrolled: 5-line block ×43, first 2 shown]
	v_mad_u64_u32 v[74:75], null, v64, s31, v[66:67]
	s_lshl_b32 s42, s2, 2
	;;#ASMSTART
	
             v_fmac_f32 v62, v80, v76 
             
	;;#ASMEND
	;;#ASMSTART
	
             v_fmac_f32 v63, v80, v77 
             
	;;#ASMEND
	;; [unrolled: 5-line block ×5, first 2 shown]
	s_delay_alu instid0(VALU_DEP_1)
	v_lshlrev_b32_e32 v66, 2, v74
	;;#ASMSTART
	
             v_fmac_f32 v59, v81, v77 
             
	;;#ASMEND
	;;#ASMSTART
	
             v_fmac_f32 v56, v81, v78 
             
	;;#ASMEND
	;; [unrolled: 5-line block ×11, first 2 shown]
	buffer_load_b128 v[66:69], v66, s[40:43], 0 offen
	s_lshl_b32 s2, s31, 6
	v_add_nc_u32_e32 v82, s30, v74
	v_add_lshl_u32 v70, v74, s2, 2
	s_lshl_b32 s8, s5, 6
	s_delay_alu instid0(VALU_DEP_2)
	v_lshlrev_b32_e32 v74, 2, v82
	buffer_load_b128 v[70:73], v70, s[40:43], 0 offen
	v_add_lshl_u32 v78, v82, s2, 2
	v_add_nc_u32_e32 v86, s30, v82
	s_clause 0x1
	buffer_load_b128 v[74:77], v74, s[40:43], 0 offen
	buffer_load_b128 v[78:81], v78, s[40:43], 0 offen
	v_lshlrev_b32_e32 v82, 2, v86
	v_add_lshl_u32 v87, v86, s2, 2
	v_add_nc_u32_e32 v98, s30, v86
	s_clause 0x1
	buffer_load_b128 v[82:85], v82, s[40:43], 0 offen
	buffer_load_b128 v[86:89], v87, s[40:43], 0 offen
	v_lshlrev_b32_e32 v90, 2, v98
	v_mad_u64_u32 v[106:107], null, s30, 61, v[98:99]
	v_add_lshl_u32 v94, v98, s2, 2
	s_clause 0x1
	buffer_load_b128 v[90:93], v90, s[40:43], 0 offen
	buffer_load_b128 v[94:97], v94, s[40:43], 0 offen
	v_add_nc_u32_e32 v110, s30, v106
	v_lshlrev_b32_e32 v98, 2, v106
	v_add_lshl_u32 v102, v106, s2, 2
	s_delay_alu instid0(VALU_DEP_3)
	v_add_nc_u32_e32 v122, s30, v110
	v_add_lshl_u32 v111, v110, s2, 2
	s_clause 0x1
	buffer_load_b128 v[98:101], v98, s[40:43], 0 offen
	buffer_load_b128 v[102:105], v102, s[40:43], 0 offen
	v_lshlrev_b32_e32 v106, 2, v110
	v_add_nc_u32_e32 v126, s30, v122
	v_lshlrev_b32_e32 v114, 2, v122
	v_add_lshl_u32 v118, v122, s2, 2
	s_clause 0x1
	buffer_load_b128 v[110:113], v111, s[40:43], 0 offen
	buffer_load_b128 v[106:109], v106, s[40:43], 0 offen
	v_lshlrev_b32_e32 v122, 2, v126
	v_add_lshl_u32 v126, v126, s2, 2
	s_load_b32 s2, s[0:1], 0x1e8
	v_cmp_gt_i32_e64 s0, s14, v65
	s_clause 0x1
	buffer_load_b128 v[118:121], v118, s[40:43], 0 offen
	buffer_load_b128 v[126:129], v126, s[40:43], 0 offen
	s_waitcnt lgkmcnt(0)
	v_cmp_gt_i32_e32 vcc_lo, s2, v64
	s_and_b32 s1, s0, vcc_lo
	s_waitcnt vmcnt(13)
	v_cndmask_b32_e64 v69, 0, v69, s1
	v_cndmask_b32_e64 v66, 0, v66, s1
	;; [unrolled: 1-line block ×4, first 2 shown]
	v_cmp_gt_i32_e64 s1, s2, v130
	s_delay_alu instid0(VALU_DEP_4) | instskip(NEXT) | instid1(VALU_DEP_3)
	v_add_f32_e32 v40, v40, v66
	v_dual_add_f32 v38, v38, v67 :: v_dual_add_f32 v39, v39, v68
	s_delay_alu instid0(VALU_DEP_3)
	s_and_b32 s0, s0, s1
	v_or_b32_e32 v131, 1, v65
	s_waitcnt vmcnt(12)
	v_cndmask_b32_e64 v70, 0, v70, s0
	v_dual_max_f32 v66, 0, v40 :: v_dual_max_f32 v67, 0, v38
	v_max_f32_e32 v68, 0, v39
	v_cndmask_b32_e64 v39, 0, v71, s0
	s_delay_alu instid0(VALU_DEP_4)
	v_add_f32_e32 v38, v51, v70
	buffer_load_b128 v[114:117], v114, s[40:43], 0 offen
	v_cmp_gt_i32_e64 s2, s14, v131
	v_cndmask_b32_e64 v40, 0, v73, s0
	v_max_f32_e32 v70, 0, v38
	v_add_f32_e32 v38, v50, v39
	s_delay_alu instid0(VALU_DEP_1) | instskip(NEXT) | instid1(VALU_DEP_1)
	v_dual_add_f32 v36, v36, v69 :: v_dual_max_f32 v71, 0, v38
	v_max_f32_e32 v69, 0, v36
	v_cndmask_b32_e64 v36, 0, v72, s0
	s_and_b32 s0, s2, vcc_lo
	v_add_f32_e32 v38, v49, v40
	s_waitcnt vmcnt(12)
	v_cndmask_b32_e64 v51, 0, v75, s0
	v_cndmask_b32_e64 v39, 0, v77, s0
	;; [unrolled: 1-line block ×4, first 2 shown]
	s_and_b32 s0, s2, s1
	v_add_f32_e32 v32, v32, v51
	s_delay_alu instid0(VALU_DEP_3) | instskip(NEXT) | instid1(VALU_DEP_2)
	v_dual_add_f32 v27, v27, v39 :: v_dual_add_f32 v28, v28, v50
	v_max_f32_e32 v49, 0, v32
	buffer_load_b128 v[122:125], v122, s[40:43], 0 offen
	s_waitcnt vmcnt(12)
	v_cndmask_b32_e64 v32, 0, v78, s0
	v_or_b32_e32 v78, 2, v65
	v_max_f32_e32 v51, 0, v27
	v_cndmask_b32_e64 v27, 0, v80, s0
	v_add_f32_e32 v36, v48, v36
	v_max_f32_e32 v48, 0, v28
	v_add_f32_e32 v28, v29, v40
	v_cndmask_b32_e64 v29, 0, v81, s0
	v_cmp_gt_i32_e64 s2, s14, v78
	v_dual_add_f32 v27, v41, v27 :: v_dual_add_nc_u32 v80, 0x41, v65
	s_delay_alu instid0(VALU_DEP_3)
	v_dual_max_f32 v50, 0, v28 :: v_dual_add_f32 v29, v42, v29
	v_max_f32_e32 v72, 0, v36
	v_cndmask_b32_e64 v36, 0, v79, s0
	s_and_b32 s0, s2, vcc_lo
	v_add_f32_e32 v28, v44, v32
	s_waitcnt vmcnt(11)
	v_cndmask_b32_e64 v40, 0, v84, s0
	v_dual_max_f32 v73, 0, v38 :: v_dual_add_f32 v32, v47, v36
	v_cndmask_b32_e64 v36, 0, v83, s0
	v_max_f32_e32 v38, 0, v28
	s_delay_alu instid0(VALU_DEP_4)
	v_add_f32_e32 v23, v23, v40
	v_cndmask_b32_e64 v28, 0, v85, s0
	v_max_f32_e32 v39, 0, v32
	v_cndmask_b32_e64 v32, 0, v82, s0
	v_or_b32_e32 v47, 3, v65
	s_and_b32 s0, s2, s1
	v_dual_add_f32 v21, v21, v36 :: v_dual_max_f32 v76, 0, v23
	v_add_nc_u32_e32 v79, 64, v65
	s_waitcnt vmcnt(10)
	v_cndmask_b32_e64 v23, 0, v87, s0
	v_add_f32_e32 v19, v19, v32
	v_add_f32_e32 v18, v18, v28
	v_cmp_gt_i32_e64 s2, s14, v47
	v_max_f32_e32 v75, 0, v21
	v_cndmask_b32_e64 v21, 0, v86, s0
	v_add_f32_e32 v23, v34, v23
	v_max_f32_e32 v74, 0, v19
	v_cndmask_b32_e64 v19, 0, v89, s0
	v_max_f32_e32 v77, 0, v18
	v_cndmask_b32_e64 v18, 0, v88, s0
	s_and_b32 s0, s2, vcc_lo
	v_add_f32_e32 v21, v33, v21
	s_waitcnt vmcnt(9)
	v_cndmask_b32_e64 v33, 0, v93, s0
	v_max_f32_e32 v28, 0, v23
	v_cndmask_b32_e64 v23, 0, v92, s0
	v_max_f32_e32 v41, 0, v29
	v_cndmask_b32_e64 v29, 0, v90, s0
	v_add_f32_e32 v7, v7, v33
	v_add_f32_e32 v19, v31, v19
	v_dual_add_f32 v9, v9, v23 :: v_dual_add_f32 v18, v30, v18
	s_delay_alu instid0(VALU_DEP_4) | instskip(NEXT) | instid1(VALU_DEP_2)
	v_add_f32_e32 v10, v10, v29
	v_dual_max_f32 v34, 0, v7 :: v_dual_max_f32 v33, 0, v9
	s_delay_alu instid0(VALU_DEP_3)
	v_dual_max_f32 v40, 0, v27 :: v_dual_max_f32 v29, 0, v18
	v_max_f32_e32 v27, 0, v21
	v_cndmask_b32_e64 v21, 0, v91, s0
	s_and_b32 s0, s2, s1
	v_cmp_gt_i32_e64 s2, s14, v79
	s_waitcnt vmcnt(8)
	v_cndmask_b32_e64 v18, 0, v94, s0
	v_cndmask_b32_e64 v9, 0, v95, s0
	v_add_f32_e32 v8, v8, v21
	s_delay_alu instid0(VALU_DEP_1) | instskip(NEXT) | instid1(VALU_DEP_4)
	v_max_f32_e32 v32, 0, v8
	v_add_f32_e32 v8, v25, v18
	v_cndmask_b32_e64 v18, 0, v96, s0
	s_delay_alu instid0(VALU_DEP_2) | instskip(NEXT) | instid1(VALU_DEP_2)
	v_dual_max_f32 v30, 0, v19 :: v_dual_max_f32 v7, 0, v8
	v_add_f32_e32 v15, v15, v18
	v_max_f32_e32 v31, 0, v10
	v_cndmask_b32_e64 v10, 0, v97, s0
	s_and_b32 s0, s2, vcc_lo
	v_add_f32_e32 v8, v20, v9
	s_waitcnt vmcnt(7)
	v_cndmask_b32_e64 v9, 0, v98, s0
	v_cndmask_b32_e64 v20, 0, v99, s0
	;; [unrolled: 1-line block ×3, first 2 shown]
	v_add_f32_e32 v10, v16, v10
	s_delay_alu instid0(VALU_DEP_4) | instskip(NEXT) | instid1(VALU_DEP_4)
	v_add_f32_e32 v16, v24, v9
	v_add_f32_e32 v18, v26, v20
	v_cndmask_b32_e64 v20, 0, v100, s0
	s_and_b32 s0, s2, s1
	v_cmp_gt_i32_e64 s2, s14, v80
	v_max_f32_e32 v9, 0, v15
	v_dual_max_f32 v15, 0, v16 :: v_dual_max_f32 v16, 0, v18
	v_add_f32_e32 v18, v22, v20
	s_waitcnt vmcnt(6)
	v_cndmask_b32_e64 v21, 0, v105, s0
	v_cndmask_b32_e64 v20, 0, v102, s0
	;; [unrolled: 1-line block ×4, first 2 shown]
	s_and_b32 s0, s2, vcc_lo
	v_add_f32_e32 v19, v17, v19
	s_waitcnt vmcnt(4)
	v_cndmask_b32_e64 v25, 0, v108, s0
	v_add_f32_e32 v20, v62, v20
	v_add_f32_e32 v22, v63, v22
	v_cndmask_b32_e64 v24, 0, v107, s0
	s_delay_alu instid0(VALU_DEP_4)
	v_dual_add_f32 v23, v60, v23 :: v_dual_add_f32 v14, v14, v25
	v_add_nc_u32_e32 v60, 0x42, v65
	v_cndmask_b32_e64 v26, 0, v109, s0
	v_add_f32_e32 v36, v61, v21
	v_add_f32_e32 v13, v13, v24
	v_max_f32_e32 v25, 0, v14
	v_dual_max_f32 v17, 0, v18 :: v_dual_max_f32 v18, 0, v19
	v_dual_max_f32 v19, 0, v20 :: v_dual_max_f32 v20, 0, v22
	v_cndmask_b32_e64 v22, 0, v106, s0
	v_max_f32_e32 v8, 0, v8
	s_and_b32 s0, s2, s1
	v_cmp_gt_i32_e64 s2, s14, v60
	v_max_f32_e32 v21, 0, v23
	v_add_f32_e32 v11, v11, v22
	v_max_f32_e32 v10, 0, v10
	v_dual_max_f32 v22, 0, v36 :: v_dual_add_nc_u32 v61, 0x43, v65
	s_delay_alu instid0(VALU_DEP_3)
	v_dual_max_f32 v24, 0, v13 :: v_dual_max_f32 v23, 0, v11
	v_add_f32_e32 v11, v12, v26
	v_cndmask_b32_e64 v13, 0, v113, s0
	v_cndmask_b32_e64 v12, 0, v110, s0
	;; [unrolled: 1-line block ×4, first 2 shown]
	s_and_b32 s0, s2, vcc_lo
	s_delay_alu instid0(VALU_DEP_3) | instskip(NEXT) | instid1(VALU_DEP_3)
	v_dual_max_f32 v26, 0, v11 :: v_dual_add_f32 v11, v58, v12
	v_add_f32_e32 v12, v59, v14
	s_delay_alu instid0(VALU_DEP_2)
	v_dual_add_f32 v44, v57, v13 :: v_dual_max_f32 v11, 0, v11
	s_waitcnt vmcnt(1)
	v_cndmask_b32_e64 v42, 0, v117, s0
	v_cndmask_b32_e64 v14, 0, v114, s0
	;; [unrolled: 1-line block ×4, first 2 shown]
	s_and_b32 s0, s2, s1
	v_cmp_gt_i32_e64 s2, s14, v61
	v_add_f32_e32 v5, v5, v14
	v_add_f32_e32 v3, v3, v57
	s_lshl_b32 s14, s6, 2
	s_delay_alu instid0(VALU_DEP_3) | instskip(SKIP_4) | instid1(VALU_DEP_4)
	s_and_b32 vcc_lo, s2, vcc_lo
	v_add_f32_e32 v36, v56, v36
	v_dual_max_f32 v56, 0, v5 :: v_dual_add_f32 v5, v6, v58
	v_max_f32_e32 v57, 0, v3
	v_add_f32_e32 v3, v4, v42
	v_max_f32_e32 v13, 0, v36
	v_cndmask_b32_e64 v36, 0, v118, s0
	v_max_f32_e32 v58, 0, v5
	v_cndmask_b32_e64 v5, 0, v119, s0
	;; [unrolled: 2-line block ×3, first 2 shown]
	v_add_f32_e32 v4, v55, v36
	v_cndmask_b32_e64 v36, 0, v120, s0
	v_cmp_gt_i32_e64 s0, s3, v65
	s_waitcnt vmcnt(0)
	s_delay_alu instid0(VALU_DEP_3)
	v_dual_cndmask_b32 v42, 0, v125 :: v_dual_max_f32 v3, 0, v4
	v_dual_add_f32 v4, v54, v5 :: v_dual_cndmask_b32 v5, 0, v122
	v_max_f32_e32 v14, 0, v44
	v_cndmask_b32_e32 v44, 0, v123, vcc_lo
	v_add_f32_e32 v36, v52, v36
	v_add_f32_e32 v6, v53, v6
	;; [unrolled: 1-line block ×3, first 2 shown]
	s_delay_alu instid0(VALU_DEP_4) | instskip(SKIP_2) | instid1(VALU_DEP_3)
	v_add_f32_e32 v2, v2, v44
	v_cndmask_b32_e32 v44, 0, v124, vcc_lo
	s_and_b32 vcc_lo, s2, s1
	v_max_f32_e32 v52, 0, v0
	v_mul_lo_u32 v0, v65, s4
	v_max_f32_e32 v5, 0, v36
	v_dual_max_f32 v12, 0, v12 :: v_dual_max_f32 v53, 0, v2
	v_dual_add_f32 v2, v35, v44 :: v_dual_add_f32 v35, v37, v42
	v_cndmask_b32_e32 v36, 0, v127, vcc_lo
	v_dual_cndmask_b32 v42, 0, v126 :: v_dual_cndmask_b32 v37, 0, v129
	s_delay_alu instid0(VALU_DEP_3) | instskip(SKIP_1) | instid1(VALU_DEP_3)
	v_dual_max_f32 v54, 0, v2 :: v_dual_max_f32 v55, 0, v35
	v_cndmask_b32_e32 v44, 0, v128, vcc_lo
	v_dual_add_f32 v2, v43, v42 :: v_dual_add_f32 v43, v45, v36
	v_mad_u64_u32 v[35:36], null, v64, s5, v[0:1]
	v_cmp_gt_i32_e32 vcc_lo, s7, v64
	v_cmp_gt_i32_e64 s1, s7, v130
	v_cmp_gt_i32_e64 s2, s3, v131
	v_max_f32_e32 v42, 0, v2
	v_add_f32_e32 v44, v46, v44
	s_and_b32 s7, s0, vcc_lo
	v_add_nc_u32_e32 v0, s8, v35
	s_and_b32 s0, s0, s1
	v_cndmask_b32_e64 v2, 0x80000000, 0, s7
	v_cndmask_b32_e64 v36, 0x80000000, 0, s0
	s_and_b32 s0, s2, s1
	v_add_nc_u32_e32 v46, s4, v0
	v_cndmask_b32_e64 v45, 0x80000000, 0, s0
	v_lshl_add_u32 v2, v35, 2, v2
	v_lshl_add_u32 v0, v0, 2, v36
	v_add_f32_e32 v1, v1, v37
	v_cmp_gt_i32_e64 s0, s3, v78
	v_lshl_add_u32 v36, v46, 2, v45
	s_clause 0x2
	buffer_store_b128 v[66:69], v2, s[12:15], 0 offen
	buffer_store_b128 v[70:73], v0, s[12:15], 0 offen
	;; [unrolled: 1-line block ×3, first 2 shown]
	v_add_nc_u32_e32 v0, s4, v35
	s_and_b32 s2, s2, vcc_lo
	v_dual_max_f32 v45, 0, v1 :: v_dual_add_nc_u32 v2, s4, v46
	v_cndmask_b32_e64 v1, 0x80000000, 0, s2
	s_delay_alu instid0(VALU_DEP_3)
	v_add_nc_u32_e32 v35, s4, v0
	v_max_f32_e32 v4, 0, v4
	v_cmp_gt_i32_e64 s2, s3, v47
	s_and_b32 s6, s0, vcc_lo
	s_and_b32 s0, s0, s1
	v_add_nc_u32_e32 v37, s4, v2
	v_cndmask_b32_e64 v36, 0x80000000, 0, s6
	v_cndmask_b32_e64 v38, 0x80000000, 0, s0
	s_and_b32 s0, s2, s1
	v_lshl_add_u32 v0, v0, 2, v1
	v_cndmask_b32_e64 v39, 0x80000000, 0, s0
	v_subrev_nc_u32_e32 v40, s8, v37
	v_lshl_add_u32 v1, v35, 2, v36
	s_and_b32 s0, s2, vcc_lo
	v_lshl_add_u32 v2, v2, 2, v38
	v_lshl_add_u32 v35, v37, 2, v39
	v_cndmask_b32_e64 v37, 0x80000000, 0, s0
	v_cmp_gt_i32_e64 s0, s3, v61
	s_add_i32 s2, s5, s4
	v_lshlrev_b32_e32 v36, 2, v40
	s_clause 0x3
	buffer_store_b128 v[48:51], v0, s[12:15], 0 offen
	buffer_store_b128 v[74:77], v1, s[12:15], 0 offen
	;; [unrolled: 1-line block ×4, first 2 shown]
	v_lshl_add_u32 v1, s2, 6, v40
	v_cmp_ge_i32_e64 s2, s3, v61
	s_and_b32 s7, s0, vcc_lo
	s_and_b32 s0, s0, s1
	v_add_nc_u32_e32 v0, v36, v37
	v_cndmask_b32_e64 v2, 0x80000000, 0, s7
	v_cndmask_b32_e64 v7, 0x80000000, 0, s0
	v_subrev_nc_u32_e32 v8, s4, v1
	s_and_b32 s0, s2, s1
	s_lshl_b32 s6, s4, 8
	v_cndmask_b32_e64 v9, 0x80000000, 0, s0
	v_cmp_gt_i32_e64 s0, s3, v60
	v_dual_max_f32 v43, 0, v43 :: v_dual_max_f32 v44, 0, v44
	v_add3_u32 v2, v2, s6, v36
	buffer_store_b128 v[31:34], v0, s[12:15], 0 offen
	v_lshl_add_u32 v0, v1, 2, v7
	v_subrev_nc_u32_e32 v1, s8, v8
	v_cmp_ge_i32_e64 s2, s3, v60
	v_max_f32_e32 v6, 0, v6
	v_lshl_add_u32 v7, v8, 2, v9
	s_and_b32 s0, s0, vcc_lo
	s_clause 0x1
	buffer_store_b128 v[52:55], v2, s[12:15], 0 offen
	buffer_store_b128 v[42:45], v0, s[12:15], 0 offen
	v_subrev_nc_u32_e32 v0, s4, v1
	v_cndmask_b32_e64 v2, 0x80000000, 0, s0
	v_cmp_gt_i32_e64 s0, s3, v80
	s_and_b32 s2, s2, vcc_lo
	buffer_store_b128 v[3:6], v7, s[12:15], 0 offen
	v_cndmask_b32_e64 v4, 0x80000000, 0, s2
	v_cmp_gt_i32_e64 s2, s3, v79
	v_add_nc_u32_e32 v3, s8, v0
	s_and_b32 s0, s0, s1
	v_lshl_add_u32 v1, v1, 2, v2
	v_cndmask_b32_e64 v6, 0x80000000, 0, s0
	v_cmp_ge_i32_e64 s0, s3, v80
	s_and_b32 s2, s2, vcc_lo
	v_subrev_nc_u32_e32 v5, s4, v3
	v_cndmask_b32_e64 v7, 0x80000000, 0, s2
	s_lshl_b32 s2, s5, 8
	s_and_b32 s0, s0, s1
	v_lshl_add_u32 v0, v0, 2, v4
	v_lshlrev_b32_e32 v5, 2, v5
	v_cndmask_b32_e64 v8, 0x80000000, 0, s0
	v_subrev_nc_u32_e32 v7, s2, v7
	v_lshl_add_u32 v2, v3, 2, v6
	s_delay_alu instid0(VALU_DEP_3) | instskip(NEXT) | instid1(VALU_DEP_3)
	v_add_nc_u32_e32 v3, v5, v8
	v_add_nc_u32_e32 v4, v7, v5
	s_clause 0x4
	buffer_store_b128 v[56:59], v1, s[12:15], 0 offen
	buffer_store_b128 v[23:26], v0, s[12:15], 0 offen
	;; [unrolled: 1-line block ×5, first 2 shown]
	s_nop 0
	s_sendmsg sendmsg(MSG_DEALLOC_VGPRS)
	s_endpgm
	.section	.rodata,"a",@progbits
	.p2align	6, 0x0
	.amdhsa_kernel _ZN2ck16tensor_operation6device12_GLOBAL__N_137kernel_grouped_conv_fwd_dl_multiple_dINS_32GridwiseGemmDlMultipleD_km_kn_mnILi256EffNS_5TupleIJfEEEfNS0_12element_wise11PassThroughES8_NS7_7AddReluELNS_25InMemoryDataOperationEnumE0ENS_16TensorDescriptorINS5_IJNS_5EmbedINS5_IJiiiiiEEESD_Lb0EEENS_11PassThroughIiEENS_3PadIiiiLb0EEESI_SI_SG_SG_NSC_INS5_IJiiEEESJ_Lb0EEESK_SK_SG_NS_23Merge_v2_magic_divisionINS5_IJiiiiEEEEESN_NS_8RightPadIiiLb0EEESP_NS_7UnMergeISJ_Lb0EEESG_EEENS5_IJNS_8SequenceIJLi0EEEENST_IJLi1EEEENST_IJLi2EEEENST_IJLi3EEEENST_IJLi4EEEENST_IJLi5EEEENST_IJLi6EEEENST_IJLi7EEEENST_IJLi8EEEENST_IJLi9EEEENST_IJLi10EEEENST_IJLi11ELi13ELi15ELi17EEEENST_IJLi12ELi14ELi16ELi18EEEENST_IJLi19EEEENST_IJLi20EEEENST_IJLi22EEEENST_IJLi21EEEEEEENS5_IJNST_IJLi1ELi2ELi3ELi4ELi5EEEES10_S11_S12_S13_S14_NST_IJLi11EEEENST_IJLi12ELi13EEEENST_IJLi14ELi15EEEENST_IJLi16ELi17EEEENST_IJLi18EEEES17_S18_S1A_S19_NST_IJLi23ELi24EEEENST_IJLi25EEEEEEENST_IJLi23ELi25ELi24EEEElEENSB_INS5_IJSR_SP_SP_SR_SG_EEENS5_IJSU_SV_SW_SY_SX_EEENS5_IJNST_IJLi1ELi2EEEESX_SY_NST_IJLi5ELi6EEEES11_EEENST_IJLi5ELi7ELi6EEEElEENSB_INS5_IJSK_SP_SP_EEENS5_IJSU_SV_SW_EEENS5_IJS1P_SX_SY_EEENST_IJLi3ELi4EEEElEELi128ELi128ELi16ELi1ELi4ELi4ELi1ENST_IJLi8ELi2EEEES1Z_NST_IJLi8ELi1ELi1ELi1EEEENST_IJLi2ELi1ELi128ELi1EEEENST_IJLi1ELi2ELi0ELi3EEEES22_NST_IJLi4ELi1ELi1ELi1EEEES22_NST_IJLi1ELi1ELi1ELi1EEEES20_S21_S22_S22_S23_S22_S24_NST_IJLi0ELi1ELi2ELi3ELi4ELi5EEEELi5ELi4EEEfNS5_IJPKfEEEfS8_S8_S9_NSB_INS5_IJSE_SG_SI_SI_SI_SG_SG_SK_SK_SK_SG_SN_SN_SP_SP_SR_SG_SG_NSQ_INS5_IJiNS_17integral_constantIiLi128EEEEEELb0EEENSF_INS2A_IiLi1EEEEEEEENS5_IJSU_SV_SW_SX_SY_SZ_S10_S11_S12_S13_S14_S15_S16_S17_S18_S19_S1A_NST_IJLi23EEEES1J_NST_IJLi24EEEEEEENS5_IJS1C_S10_S11_S12_S13_S14_S1D_S1E_S1F_S1G_S1H_S17_S18_S1A_S19_S1I_S1J_NST_IJLi26EEEENST_IJLi27ELi28EEEENST_IJLi29EEEEEEENST_IJLi26ELi27ELi28ELi29EEEElEENSB_INS5_IJSR_SP_SP_SR_SG_SG_S2D_S2F_EEENS5_IJSU_SV_SW_SY_SX_SZ_S11_S10_EEENS5_IJS1P_SX_SY_S1Q_S11_S12_NST_IJLi9ELi10EEEES1D_EEENST_IJLi8ELi9ELi10ELi11EEEElEENS5_IJNSB_INS5_IJSK_SP_SP_NSQ_INS5_IJiNS2A_IiLi2EEENS2A_IiLi64EEEEEELb0EEES2Z_EEENS5_IJSU_SV_SW_SX_SY_EEENS5_IJS1P_SX_SY_NST_IJLi5ELi6ELi7EEEENST_IJLi8ELi9ELi10EEEEEEENST_IJLi5ELi6ELi7ELi8ELi9ELi10EEEElEEEEES36_NS_31BlockToCTileMap_M00_N00_M01_N01ILi128ELi128ES1Y_Lb0EEENS1_30ComputePtrOffsetOfStridedBatchILi1ELi1ELi1EvEELb0ELb0EEEvPKT0_S3E_T1_PT2_T3_T4_T5_iT6_T7_T8_T9_T10_T11_
		.amdhsa_group_segment_fixed_size 32768
		.amdhsa_private_segment_fixed_size 0
		.amdhsa_kernarg_size 1024
		.amdhsa_user_sgpr_count 15
		.amdhsa_user_sgpr_dispatch_ptr 0
		.amdhsa_user_sgpr_queue_ptr 0
		.amdhsa_user_sgpr_kernarg_segment_ptr 1
		.amdhsa_user_sgpr_dispatch_id 0
		.amdhsa_user_sgpr_private_segment_size 0
		.amdhsa_wavefront_size32 1
		.amdhsa_uses_dynamic_stack 0
		.amdhsa_enable_private_segment 0
		.amdhsa_system_sgpr_workgroup_id_x 1
		.amdhsa_system_sgpr_workgroup_id_y 0
		.amdhsa_system_sgpr_workgroup_id_z 0
		.amdhsa_system_sgpr_workgroup_info 0
		.amdhsa_system_vgpr_workitem_id 0
		.amdhsa_next_free_vgpr 132
		.amdhsa_next_free_sgpr 68
		.amdhsa_reserve_vcc 1
		.amdhsa_float_round_mode_32 0
		.amdhsa_float_round_mode_16_64 0
		.amdhsa_float_denorm_mode_32 3
		.amdhsa_float_denorm_mode_16_64 3
		.amdhsa_dx10_clamp 1
		.amdhsa_ieee_mode 1
		.amdhsa_fp16_overflow 0
		.amdhsa_workgroup_processor_mode 1
		.amdhsa_memory_ordered 1
		.amdhsa_forward_progress 0
		.amdhsa_shared_vgpr_count 0
		.amdhsa_exception_fp_ieee_invalid_op 0
		.amdhsa_exception_fp_denorm_src 0
		.amdhsa_exception_fp_ieee_div_zero 0
		.amdhsa_exception_fp_ieee_overflow 0
		.amdhsa_exception_fp_ieee_underflow 0
		.amdhsa_exception_fp_ieee_inexact 0
		.amdhsa_exception_int_div_zero 0
	.end_amdhsa_kernel
	.section	.text._ZN2ck16tensor_operation6device12_GLOBAL__N_137kernel_grouped_conv_fwd_dl_multiple_dINS_32GridwiseGemmDlMultipleD_km_kn_mnILi256EffNS_5TupleIJfEEEfNS0_12element_wise11PassThroughES8_NS7_7AddReluELNS_25InMemoryDataOperationEnumE0ENS_16TensorDescriptorINS5_IJNS_5EmbedINS5_IJiiiiiEEESD_Lb0EEENS_11PassThroughIiEENS_3PadIiiiLb0EEESI_SI_SG_SG_NSC_INS5_IJiiEEESJ_Lb0EEESK_SK_SG_NS_23Merge_v2_magic_divisionINS5_IJiiiiEEEEESN_NS_8RightPadIiiLb0EEESP_NS_7UnMergeISJ_Lb0EEESG_EEENS5_IJNS_8SequenceIJLi0EEEENST_IJLi1EEEENST_IJLi2EEEENST_IJLi3EEEENST_IJLi4EEEENST_IJLi5EEEENST_IJLi6EEEENST_IJLi7EEEENST_IJLi8EEEENST_IJLi9EEEENST_IJLi10EEEENST_IJLi11ELi13ELi15ELi17EEEENST_IJLi12ELi14ELi16ELi18EEEENST_IJLi19EEEENST_IJLi20EEEENST_IJLi22EEEENST_IJLi21EEEEEEENS5_IJNST_IJLi1ELi2ELi3ELi4ELi5EEEES10_S11_S12_S13_S14_NST_IJLi11EEEENST_IJLi12ELi13EEEENST_IJLi14ELi15EEEENST_IJLi16ELi17EEEENST_IJLi18EEEES17_S18_S1A_S19_NST_IJLi23ELi24EEEENST_IJLi25EEEEEEENST_IJLi23ELi25ELi24EEEElEENSB_INS5_IJSR_SP_SP_SR_SG_EEENS5_IJSU_SV_SW_SY_SX_EEENS5_IJNST_IJLi1ELi2EEEESX_SY_NST_IJLi5ELi6EEEES11_EEENST_IJLi5ELi7ELi6EEEElEENSB_INS5_IJSK_SP_SP_EEENS5_IJSU_SV_SW_EEENS5_IJS1P_SX_SY_EEENST_IJLi3ELi4EEEElEELi128ELi128ELi16ELi1ELi4ELi4ELi1ENST_IJLi8ELi2EEEES1Z_NST_IJLi8ELi1ELi1ELi1EEEENST_IJLi2ELi1ELi128ELi1EEEENST_IJLi1ELi2ELi0ELi3EEEES22_NST_IJLi4ELi1ELi1ELi1EEEES22_NST_IJLi1ELi1ELi1ELi1EEEES20_S21_S22_S22_S23_S22_S24_NST_IJLi0ELi1ELi2ELi3ELi4ELi5EEEELi5ELi4EEEfNS5_IJPKfEEEfS8_S8_S9_NSB_INS5_IJSE_SG_SI_SI_SI_SG_SG_SK_SK_SK_SG_SN_SN_SP_SP_SR_SG_SG_NSQ_INS5_IJiNS_17integral_constantIiLi128EEEEEELb0EEENSF_INS2A_IiLi1EEEEEEEENS5_IJSU_SV_SW_SX_SY_SZ_S10_S11_S12_S13_S14_S15_S16_S17_S18_S19_S1A_NST_IJLi23EEEES1J_NST_IJLi24EEEEEEENS5_IJS1C_S10_S11_S12_S13_S14_S1D_S1E_S1F_S1G_S1H_S17_S18_S1A_S19_S1I_S1J_NST_IJLi26EEEENST_IJLi27ELi28EEEENST_IJLi29EEEEEEENST_IJLi26ELi27ELi28ELi29EEEElEENSB_INS5_IJSR_SP_SP_SR_SG_SG_S2D_S2F_EEENS5_IJSU_SV_SW_SY_SX_SZ_S11_S10_EEENS5_IJS1P_SX_SY_S1Q_S11_S12_NST_IJLi9ELi10EEEES1D_EEENST_IJLi8ELi9ELi10ELi11EEEElEENS5_IJNSB_INS5_IJSK_SP_SP_NSQ_INS5_IJiNS2A_IiLi2EEENS2A_IiLi64EEEEEELb0EEES2Z_EEENS5_IJSU_SV_SW_SX_SY_EEENS5_IJS1P_SX_SY_NST_IJLi5ELi6ELi7EEEENST_IJLi8ELi9ELi10EEEEEEENST_IJLi5ELi6ELi7ELi8ELi9ELi10EEEElEEEEES36_NS_31BlockToCTileMap_M00_N00_M01_N01ILi128ELi128ES1Y_Lb0EEENS1_30ComputePtrOffsetOfStridedBatchILi1ELi1ELi1EvEELb0ELb0EEEvPKT0_S3E_T1_PT2_T3_T4_T5_iT6_T7_T8_T9_T10_T11_,"axG",@progbits,_ZN2ck16tensor_operation6device12_GLOBAL__N_137kernel_grouped_conv_fwd_dl_multiple_dINS_32GridwiseGemmDlMultipleD_km_kn_mnILi256EffNS_5TupleIJfEEEfNS0_12element_wise11PassThroughES8_NS7_7AddReluELNS_25InMemoryDataOperationEnumE0ENS_16TensorDescriptorINS5_IJNS_5EmbedINS5_IJiiiiiEEESD_Lb0EEENS_11PassThroughIiEENS_3PadIiiiLb0EEESI_SI_SG_SG_NSC_INS5_IJiiEEESJ_Lb0EEESK_SK_SG_NS_23Merge_v2_magic_divisionINS5_IJiiiiEEEEESN_NS_8RightPadIiiLb0EEESP_NS_7UnMergeISJ_Lb0EEESG_EEENS5_IJNS_8SequenceIJLi0EEEENST_IJLi1EEEENST_IJLi2EEEENST_IJLi3EEEENST_IJLi4EEEENST_IJLi5EEEENST_IJLi6EEEENST_IJLi7EEEENST_IJLi8EEEENST_IJLi9EEEENST_IJLi10EEEENST_IJLi11ELi13ELi15ELi17EEEENST_IJLi12ELi14ELi16ELi18EEEENST_IJLi19EEEENST_IJLi20EEEENST_IJLi22EEEENST_IJLi21EEEEEEENS5_IJNST_IJLi1ELi2ELi3ELi4ELi5EEEES10_S11_S12_S13_S14_NST_IJLi11EEEENST_IJLi12ELi13EEEENST_IJLi14ELi15EEEENST_IJLi16ELi17EEEENST_IJLi18EEEES17_S18_S1A_S19_NST_IJLi23ELi24EEEENST_IJLi25EEEEEEENST_IJLi23ELi25ELi24EEEElEENSB_INS5_IJSR_SP_SP_SR_SG_EEENS5_IJSU_SV_SW_SY_SX_EEENS5_IJNST_IJLi1ELi2EEEESX_SY_NST_IJLi5ELi6EEEES11_EEENST_IJLi5ELi7ELi6EEEElEENSB_INS5_IJSK_SP_SP_EEENS5_IJSU_SV_SW_EEENS5_IJS1P_SX_SY_EEENST_IJLi3ELi4EEEElEELi128ELi128ELi16ELi1ELi4ELi4ELi1ENST_IJLi8ELi2EEEES1Z_NST_IJLi8ELi1ELi1ELi1EEEENST_IJLi2ELi1ELi128ELi1EEEENST_IJLi1ELi2ELi0ELi3EEEES22_NST_IJLi4ELi1ELi1ELi1EEEES22_NST_IJLi1ELi1ELi1ELi1EEEES20_S21_S22_S22_S23_S22_S24_NST_IJLi0ELi1ELi2ELi3ELi4ELi5EEEELi5ELi4EEEfNS5_IJPKfEEEfS8_S8_S9_NSB_INS5_IJSE_SG_SI_SI_SI_SG_SG_SK_SK_SK_SG_SN_SN_SP_SP_SR_SG_SG_NSQ_INS5_IJiNS_17integral_constantIiLi128EEEEEELb0EEENSF_INS2A_IiLi1EEEEEEEENS5_IJSU_SV_SW_SX_SY_SZ_S10_S11_S12_S13_S14_S15_S16_S17_S18_S19_S1A_NST_IJLi23EEEES1J_NST_IJLi24EEEEEEENS5_IJS1C_S10_S11_S12_S13_S14_S1D_S1E_S1F_S1G_S1H_S17_S18_S1A_S19_S1I_S1J_NST_IJLi26EEEENST_IJLi27ELi28EEEENST_IJLi29EEEEEEENST_IJLi26ELi27ELi28ELi29EEEElEENSB_INS5_IJSR_SP_SP_SR_SG_SG_S2D_S2F_EEENS5_IJSU_SV_SW_SY_SX_SZ_S11_S10_EEENS5_IJS1P_SX_SY_S1Q_S11_S12_NST_IJLi9ELi10EEEES1D_EEENST_IJLi8ELi9ELi10ELi11EEEElEENS5_IJNSB_INS5_IJSK_SP_SP_NSQ_INS5_IJiNS2A_IiLi2EEENS2A_IiLi64EEEEEELb0EEES2Z_EEENS5_IJSU_SV_SW_SX_SY_EEENS5_IJS1P_SX_SY_NST_IJLi5ELi6ELi7EEEENST_IJLi8ELi9ELi10EEEEEEENST_IJLi5ELi6ELi7ELi8ELi9ELi10EEEElEEEEES36_NS_31BlockToCTileMap_M00_N00_M01_N01ILi128ELi128ES1Y_Lb0EEENS1_30ComputePtrOffsetOfStridedBatchILi1ELi1ELi1EvEELb0ELb0EEEvPKT0_S3E_T1_PT2_T3_T4_T5_iT6_T7_T8_T9_T10_T11_,comdat
.Lfunc_end18:
	.size	_ZN2ck16tensor_operation6device12_GLOBAL__N_137kernel_grouped_conv_fwd_dl_multiple_dINS_32GridwiseGemmDlMultipleD_km_kn_mnILi256EffNS_5TupleIJfEEEfNS0_12element_wise11PassThroughES8_NS7_7AddReluELNS_25InMemoryDataOperationEnumE0ENS_16TensorDescriptorINS5_IJNS_5EmbedINS5_IJiiiiiEEESD_Lb0EEENS_11PassThroughIiEENS_3PadIiiiLb0EEESI_SI_SG_SG_NSC_INS5_IJiiEEESJ_Lb0EEESK_SK_SG_NS_23Merge_v2_magic_divisionINS5_IJiiiiEEEEESN_NS_8RightPadIiiLb0EEESP_NS_7UnMergeISJ_Lb0EEESG_EEENS5_IJNS_8SequenceIJLi0EEEENST_IJLi1EEEENST_IJLi2EEEENST_IJLi3EEEENST_IJLi4EEEENST_IJLi5EEEENST_IJLi6EEEENST_IJLi7EEEENST_IJLi8EEEENST_IJLi9EEEENST_IJLi10EEEENST_IJLi11ELi13ELi15ELi17EEEENST_IJLi12ELi14ELi16ELi18EEEENST_IJLi19EEEENST_IJLi20EEEENST_IJLi22EEEENST_IJLi21EEEEEEENS5_IJNST_IJLi1ELi2ELi3ELi4ELi5EEEES10_S11_S12_S13_S14_NST_IJLi11EEEENST_IJLi12ELi13EEEENST_IJLi14ELi15EEEENST_IJLi16ELi17EEEENST_IJLi18EEEES17_S18_S1A_S19_NST_IJLi23ELi24EEEENST_IJLi25EEEEEEENST_IJLi23ELi25ELi24EEEElEENSB_INS5_IJSR_SP_SP_SR_SG_EEENS5_IJSU_SV_SW_SY_SX_EEENS5_IJNST_IJLi1ELi2EEEESX_SY_NST_IJLi5ELi6EEEES11_EEENST_IJLi5ELi7ELi6EEEElEENSB_INS5_IJSK_SP_SP_EEENS5_IJSU_SV_SW_EEENS5_IJS1P_SX_SY_EEENST_IJLi3ELi4EEEElEELi128ELi128ELi16ELi1ELi4ELi4ELi1ENST_IJLi8ELi2EEEES1Z_NST_IJLi8ELi1ELi1ELi1EEEENST_IJLi2ELi1ELi128ELi1EEEENST_IJLi1ELi2ELi0ELi3EEEES22_NST_IJLi4ELi1ELi1ELi1EEEES22_NST_IJLi1ELi1ELi1ELi1EEEES20_S21_S22_S22_S23_S22_S24_NST_IJLi0ELi1ELi2ELi3ELi4ELi5EEEELi5ELi4EEEfNS5_IJPKfEEEfS8_S8_S9_NSB_INS5_IJSE_SG_SI_SI_SI_SG_SG_SK_SK_SK_SG_SN_SN_SP_SP_SR_SG_SG_NSQ_INS5_IJiNS_17integral_constantIiLi128EEEEEELb0EEENSF_INS2A_IiLi1EEEEEEEENS5_IJSU_SV_SW_SX_SY_SZ_S10_S11_S12_S13_S14_S15_S16_S17_S18_S19_S1A_NST_IJLi23EEEES1J_NST_IJLi24EEEEEEENS5_IJS1C_S10_S11_S12_S13_S14_S1D_S1E_S1F_S1G_S1H_S17_S18_S1A_S19_S1I_S1J_NST_IJLi26EEEENST_IJLi27ELi28EEEENST_IJLi29EEEEEEENST_IJLi26ELi27ELi28ELi29EEEElEENSB_INS5_IJSR_SP_SP_SR_SG_SG_S2D_S2F_EEENS5_IJSU_SV_SW_SY_SX_SZ_S11_S10_EEENS5_IJS1P_SX_SY_S1Q_S11_S12_NST_IJLi9ELi10EEEES1D_EEENST_IJLi8ELi9ELi10ELi11EEEElEENS5_IJNSB_INS5_IJSK_SP_SP_NSQ_INS5_IJiNS2A_IiLi2EEENS2A_IiLi64EEEEEELb0EEES2Z_EEENS5_IJSU_SV_SW_SX_SY_EEENS5_IJS1P_SX_SY_NST_IJLi5ELi6ELi7EEEENST_IJLi8ELi9ELi10EEEEEEENST_IJLi5ELi6ELi7ELi8ELi9ELi10EEEElEEEEES36_NS_31BlockToCTileMap_M00_N00_M01_N01ILi128ELi128ES1Y_Lb0EEENS1_30ComputePtrOffsetOfStridedBatchILi1ELi1ELi1EvEELb0ELb0EEEvPKT0_S3E_T1_PT2_T3_T4_T5_iT6_T7_T8_T9_T10_T11_, .Lfunc_end18-_ZN2ck16tensor_operation6device12_GLOBAL__N_137kernel_grouped_conv_fwd_dl_multiple_dINS_32GridwiseGemmDlMultipleD_km_kn_mnILi256EffNS_5TupleIJfEEEfNS0_12element_wise11PassThroughES8_NS7_7AddReluELNS_25InMemoryDataOperationEnumE0ENS_16TensorDescriptorINS5_IJNS_5EmbedINS5_IJiiiiiEEESD_Lb0EEENS_11PassThroughIiEENS_3PadIiiiLb0EEESI_SI_SG_SG_NSC_INS5_IJiiEEESJ_Lb0EEESK_SK_SG_NS_23Merge_v2_magic_divisionINS5_IJiiiiEEEEESN_NS_8RightPadIiiLb0EEESP_NS_7UnMergeISJ_Lb0EEESG_EEENS5_IJNS_8SequenceIJLi0EEEENST_IJLi1EEEENST_IJLi2EEEENST_IJLi3EEEENST_IJLi4EEEENST_IJLi5EEEENST_IJLi6EEEENST_IJLi7EEEENST_IJLi8EEEENST_IJLi9EEEENST_IJLi10EEEENST_IJLi11ELi13ELi15ELi17EEEENST_IJLi12ELi14ELi16ELi18EEEENST_IJLi19EEEENST_IJLi20EEEENST_IJLi22EEEENST_IJLi21EEEEEEENS5_IJNST_IJLi1ELi2ELi3ELi4ELi5EEEES10_S11_S12_S13_S14_NST_IJLi11EEEENST_IJLi12ELi13EEEENST_IJLi14ELi15EEEENST_IJLi16ELi17EEEENST_IJLi18EEEES17_S18_S1A_S19_NST_IJLi23ELi24EEEENST_IJLi25EEEEEEENST_IJLi23ELi25ELi24EEEElEENSB_INS5_IJSR_SP_SP_SR_SG_EEENS5_IJSU_SV_SW_SY_SX_EEENS5_IJNST_IJLi1ELi2EEEESX_SY_NST_IJLi5ELi6EEEES11_EEENST_IJLi5ELi7ELi6EEEElEENSB_INS5_IJSK_SP_SP_EEENS5_IJSU_SV_SW_EEENS5_IJS1P_SX_SY_EEENST_IJLi3ELi4EEEElEELi128ELi128ELi16ELi1ELi4ELi4ELi1ENST_IJLi8ELi2EEEES1Z_NST_IJLi8ELi1ELi1ELi1EEEENST_IJLi2ELi1ELi128ELi1EEEENST_IJLi1ELi2ELi0ELi3EEEES22_NST_IJLi4ELi1ELi1ELi1EEEES22_NST_IJLi1ELi1ELi1ELi1EEEES20_S21_S22_S22_S23_S22_S24_NST_IJLi0ELi1ELi2ELi3ELi4ELi5EEEELi5ELi4EEEfNS5_IJPKfEEEfS8_S8_S9_NSB_INS5_IJSE_SG_SI_SI_SI_SG_SG_SK_SK_SK_SG_SN_SN_SP_SP_SR_SG_SG_NSQ_INS5_IJiNS_17integral_constantIiLi128EEEEEELb0EEENSF_INS2A_IiLi1EEEEEEEENS5_IJSU_SV_SW_SX_SY_SZ_S10_S11_S12_S13_S14_S15_S16_S17_S18_S19_S1A_NST_IJLi23EEEES1J_NST_IJLi24EEEEEEENS5_IJS1C_S10_S11_S12_S13_S14_S1D_S1E_S1F_S1G_S1H_S17_S18_S1A_S19_S1I_S1J_NST_IJLi26EEEENST_IJLi27ELi28EEEENST_IJLi29EEEEEEENST_IJLi26ELi27ELi28ELi29EEEElEENSB_INS5_IJSR_SP_SP_SR_SG_SG_S2D_S2F_EEENS5_IJSU_SV_SW_SY_SX_SZ_S11_S10_EEENS5_IJS1P_SX_SY_S1Q_S11_S12_NST_IJLi9ELi10EEEES1D_EEENST_IJLi8ELi9ELi10ELi11EEEElEENS5_IJNSB_INS5_IJSK_SP_SP_NSQ_INS5_IJiNS2A_IiLi2EEENS2A_IiLi64EEEEEELb0EEES2Z_EEENS5_IJSU_SV_SW_SX_SY_EEENS5_IJS1P_SX_SY_NST_IJLi5ELi6ELi7EEEENST_IJLi8ELi9ELi10EEEEEEENST_IJLi5ELi6ELi7ELi8ELi9ELi10EEEElEEEEES36_NS_31BlockToCTileMap_M00_N00_M01_N01ILi128ELi128ES1Y_Lb0EEENS1_30ComputePtrOffsetOfStridedBatchILi1ELi1ELi1EvEELb0ELb0EEEvPKT0_S3E_T1_PT2_T3_T4_T5_iT6_T7_T8_T9_T10_T11_
                                        ; -- End function
	.section	.AMDGPU.csdata,"",@progbits
; Kernel info:
; codeLenInByte = 25760
; NumSgprs: 70
; NumVgprs: 132
; ScratchSize: 0
; MemoryBound: 0
; FloatMode: 240
; IeeeMode: 1
; LDSByteSize: 32768 bytes/workgroup (compile time only)
; SGPRBlocks: 8
; VGPRBlocks: 16
; NumSGPRsForWavesPerEU: 70
; NumVGPRsForWavesPerEU: 132
; Occupancy: 8
; WaveLimiterHint : 0
; COMPUTE_PGM_RSRC2:SCRATCH_EN: 0
; COMPUTE_PGM_RSRC2:USER_SGPR: 15
; COMPUTE_PGM_RSRC2:TRAP_HANDLER: 0
; COMPUTE_PGM_RSRC2:TGID_X_EN: 1
; COMPUTE_PGM_RSRC2:TGID_Y_EN: 0
; COMPUTE_PGM_RSRC2:TGID_Z_EN: 0
; COMPUTE_PGM_RSRC2:TIDIG_COMP_CNT: 0
	.text
	.p2alignl 7, 3214868480
	.fill 96, 4, 3214868480
	.type	__hip_cuid_3d06b890f8cc622c,@object ; @__hip_cuid_3d06b890f8cc622c
	.section	.bss,"aw",@nobits
	.globl	__hip_cuid_3d06b890f8cc622c
__hip_cuid_3d06b890f8cc622c:
	.byte	0                               ; 0x0
	.size	__hip_cuid_3d06b890f8cc622c, 1

	.ident	"AMD clang version 19.0.0git (https://github.com/RadeonOpenCompute/llvm-project roc-6.4.0 25133 c7fe45cf4b819c5991fe208aaa96edf142730f1d)"
	.section	".note.GNU-stack","",@progbits
	.addrsig
	.addrsig_sym __hip_cuid_3d06b890f8cc622c
	.amdgpu_metadata
---
amdhsa.kernels:
  - .args:           []
    .group_segment_fixed_size: 0
    .kernarg_segment_align: 4
    .kernarg_segment_size: 0
    .language:       OpenCL C
    .language_version:
      - 2
      - 0
    .max_flat_workgroup_size: 1024
    .name:           _ZN2ckL12flush_icacheEv
    .private_segment_fixed_size: 0
    .sgpr_count:     0
    .sgpr_spill_count: 0
    .symbol:         _ZN2ckL12flush_icacheEv.kd
    .uniform_work_group_size: 1
    .uses_dynamic_stack: false
    .vgpr_count:     0
    .vgpr_spill_count: 0
    .wavefront_size: 32
    .workgroup_processor_mode: 1
  - .args:
      - .address_space:  global
        .offset:         0
        .size:           8
        .value_kind:     global_buffer
      - .address_space:  global
        .offset:         8
        .size:           8
        .value_kind:     global_buffer
      - .address_space:  global
        .offset:         16
        .size:           8
        .value_kind:     global_buffer
      - .address_space:  global
        .offset:         24
        .size:           8
        .value_kind:     global_buffer
      - .offset:         32
        .size:           1
        .value_kind:     by_value
      - .offset:         33
        .size:           1
        .value_kind:     by_value
      - .offset:         34
        .size:           1
        .value_kind:     by_value
      - .offset:         36
        .size:           4
        .value_kind:     by_value
      - .offset:         40
        .size:           200
        .value_kind:     by_value
      - .offset:         240
        .size:           96
        .value_kind:     by_value
      - .offset:         336
        .size:           80
        .value_kind:     by_value
      - .offset:         416
        .size:           80
        .value_kind:     by_value
      - .offset:         496
        .size:           112
        .value_kind:     by_value
      - .offset:         608
        .size:           40
        .value_kind:     by_value
      - .offset:         648
        .size:           4
        .value_kind:     hidden_block_count_x
      - .offset:         652
        .size:           4
        .value_kind:     hidden_block_count_y
      - .offset:         656
        .size:           4
        .value_kind:     hidden_block_count_z
      - .offset:         660
        .size:           2
        .value_kind:     hidden_group_size_x
      - .offset:         662
        .size:           2
        .value_kind:     hidden_group_size_y
      - .offset:         664
        .size:           2
        .value_kind:     hidden_group_size_z
      - .offset:         666
        .size:           2
        .value_kind:     hidden_remainder_x
      - .offset:         668
        .size:           2
        .value_kind:     hidden_remainder_y
      - .offset:         670
        .size:           2
        .value_kind:     hidden_remainder_z
      - .offset:         688
        .size:           8
        .value_kind:     hidden_global_offset_x
      - .offset:         696
        .size:           8
        .value_kind:     hidden_global_offset_y
      - .offset:         704
        .size:           8
        .value_kind:     hidden_global_offset_z
      - .offset:         712
        .size:           2
        .value_kind:     hidden_grid_dims
    .group_segment_fixed_size: 32768
    .kernarg_segment_align: 8
    .kernarg_segment_size: 904
    .language:       OpenCL C
    .language_version:
      - 2
      - 0
    .max_flat_workgroup_size: 256
    .name:           _ZN2ck16tensor_operation6device12_GLOBAL__N_137kernel_grouped_conv_fwd_dl_multiple_dINS_32GridwiseGemmDlMultipleD_km_kn_mnILi256EffNS_5TupleIJfEEEfNS0_12element_wise11PassThroughES8_NS7_7AddReluELNS_25InMemoryDataOperationEnumE0ENS_16TensorDescriptorINS5_IJNS_5EmbedINS5_IJiiiEEESD_Lb0EEENS_11PassThroughIiEENS_3PadIiiiLb0EEESG_SG_NSC_INS5_IJiiEEESJ_Lb0EEESG_NS_23Merge_v2_magic_divisionISJ_EESM_NS_8RightPadIiiLb0EEESO_NS_7UnMergeISJ_Lb0EEESG_EEENS5_IJNS_8SequenceIJLi0EEEENSS_IJLi1EEEENSS_IJLi2EEEENSS_IJLi3EEEENSS_IJLi4EEEENSS_IJLi5EEEENSS_IJLi6EEEENSS_IJLi7ELi9EEEENSS_IJLi8ELi10EEEENSS_IJLi11EEEENSS_IJLi12EEEENSS_IJLi14EEEENSS_IJLi13EEEEEEENS5_IJNSS_IJLi1ELi2ELi3EEEESX_SY_SZ_NSS_IJLi7EEEENSS_IJLi8ELi9EEEENSS_IJLi10EEEES12_S13_S15_S14_NSS_IJLi15ELi16EEEENSS_IJLi17EEEEEEENSS_IJLi15ELi17ELi16EEEElEENSB_INS5_IJSQ_SO_SO_SQ_SG_EEENS5_IJST_SU_SV_SX_SW_EEENS5_IJNSS_IJLi1ELi2EEEESW_SX_NSS_IJLi5ELi6EEEES18_EEENSS_IJLi5ELi7ELi6EEEElEENSB_INS5_IJSK_SO_SO_EEENS5_IJST_SU_SV_EEENS5_IJS1I_SW_SX_EEENSS_IJLi3ELi4EEEElEELi128ELi128ELi16ELi1ELi4ELi4ELi1ENSS_IJLi8ELi2EEEES1S_NSS_IJLi8ELi1ELi1ELi1EEEENSS_IJLi2ELi1ELi128ELi1EEEENSS_IJLi1ELi2ELi0ELi3EEEES1V_NSS_IJLi4ELi1ELi1ELi1EEEES1V_NSS_IJLi1ELi1ELi1ELi1EEEES1T_S1U_S1V_S1V_S1W_S1V_S1X_NSS_IJLi0ELi1ELi2ELi3ELi4ELi5EEEELi5ELi4EEEfNS5_IJPKfEEEfS8_S8_S9_NSB_INS5_IJSE_SG_SI_SG_SG_SK_SG_SM_SM_SO_SO_SQ_SG_SG_NSP_INS5_IJiNS_17integral_constantIiLi128EEEEEELb0EEENSF_INS23_IiLi1EEEEEEEENS5_IJST_SU_SV_SW_SX_SY_SZ_S10_S11_S12_S13_S14_S15_NSS_IJLi15EEEES1C_NSS_IJLi16EEEEEEENS5_IJS17_SX_SY_SZ_S18_S19_S1A_S12_S13_S15_S14_S1B_S1C_NSS_IJLi18EEEENSS_IJLi19ELi20EEEENSS_IJLi21EEEEEEENSS_IJLi18ELi19ELi20ELi21EEEElEENSB_INS5_IJSQ_SO_SO_SQ_SG_SG_S26_S28_EEENS5_IJST_SU_SV_SX_SW_SY_S18_SZ_EEENS5_IJS1I_SW_SX_S1J_S18_NSS_IJLi8EEEENSS_IJLi9ELi10EEEES12_EEENSS_IJLi8ELi9ELi10ELi11EEEElEENS5_IJNSB_INS5_IJSK_SO_SO_NSP_INS5_IJiNS23_IiLi2EEENS23_IiLi64EEEEEELb0EEES2T_EEENS5_IJST_SU_SV_SW_SX_EEENS5_IJS1I_SW_SX_NSS_IJLi5ELi6ELi7EEEENSS_IJLi8ELi9ELi10EEEEEEENSS_IJLi5ELi6ELi7ELi8ELi9ELi10EEEElEEEEES30_NS_31BlockToCTileMap_M00_N00_M01_N01ILi128ELi128ES1R_Lb0EEENS1_30ComputePtrOffsetOfStridedBatchILi1ELi1ELi1EvEELb1ELb1EEEvPKT0_S38_T1_PT2_T3_T4_T5_iT6_T7_T8_T9_T10_T11_
    .private_segment_fixed_size: 576
    .sgpr_count:     78
    .sgpr_spill_count: 0
    .symbol:         _ZN2ck16tensor_operation6device12_GLOBAL__N_137kernel_grouped_conv_fwd_dl_multiple_dINS_32GridwiseGemmDlMultipleD_km_kn_mnILi256EffNS_5TupleIJfEEEfNS0_12element_wise11PassThroughES8_NS7_7AddReluELNS_25InMemoryDataOperationEnumE0ENS_16TensorDescriptorINS5_IJNS_5EmbedINS5_IJiiiEEESD_Lb0EEENS_11PassThroughIiEENS_3PadIiiiLb0EEESG_SG_NSC_INS5_IJiiEEESJ_Lb0EEESG_NS_23Merge_v2_magic_divisionISJ_EESM_NS_8RightPadIiiLb0EEESO_NS_7UnMergeISJ_Lb0EEESG_EEENS5_IJNS_8SequenceIJLi0EEEENSS_IJLi1EEEENSS_IJLi2EEEENSS_IJLi3EEEENSS_IJLi4EEEENSS_IJLi5EEEENSS_IJLi6EEEENSS_IJLi7ELi9EEEENSS_IJLi8ELi10EEEENSS_IJLi11EEEENSS_IJLi12EEEENSS_IJLi14EEEENSS_IJLi13EEEEEEENS5_IJNSS_IJLi1ELi2ELi3EEEESX_SY_SZ_NSS_IJLi7EEEENSS_IJLi8ELi9EEEENSS_IJLi10EEEES12_S13_S15_S14_NSS_IJLi15ELi16EEEENSS_IJLi17EEEEEEENSS_IJLi15ELi17ELi16EEEElEENSB_INS5_IJSQ_SO_SO_SQ_SG_EEENS5_IJST_SU_SV_SX_SW_EEENS5_IJNSS_IJLi1ELi2EEEESW_SX_NSS_IJLi5ELi6EEEES18_EEENSS_IJLi5ELi7ELi6EEEElEENSB_INS5_IJSK_SO_SO_EEENS5_IJST_SU_SV_EEENS5_IJS1I_SW_SX_EEENSS_IJLi3ELi4EEEElEELi128ELi128ELi16ELi1ELi4ELi4ELi1ENSS_IJLi8ELi2EEEES1S_NSS_IJLi8ELi1ELi1ELi1EEEENSS_IJLi2ELi1ELi128ELi1EEEENSS_IJLi1ELi2ELi0ELi3EEEES1V_NSS_IJLi4ELi1ELi1ELi1EEEES1V_NSS_IJLi1ELi1ELi1ELi1EEEES1T_S1U_S1V_S1V_S1W_S1V_S1X_NSS_IJLi0ELi1ELi2ELi3ELi4ELi5EEEELi5ELi4EEEfNS5_IJPKfEEEfS8_S8_S9_NSB_INS5_IJSE_SG_SI_SG_SG_SK_SG_SM_SM_SO_SO_SQ_SG_SG_NSP_INS5_IJiNS_17integral_constantIiLi128EEEEEELb0EEENSF_INS23_IiLi1EEEEEEEENS5_IJST_SU_SV_SW_SX_SY_SZ_S10_S11_S12_S13_S14_S15_NSS_IJLi15EEEES1C_NSS_IJLi16EEEEEEENS5_IJS17_SX_SY_SZ_S18_S19_S1A_S12_S13_S15_S14_S1B_S1C_NSS_IJLi18EEEENSS_IJLi19ELi20EEEENSS_IJLi21EEEEEEENSS_IJLi18ELi19ELi20ELi21EEEElEENSB_INS5_IJSQ_SO_SO_SQ_SG_SG_S26_S28_EEENS5_IJST_SU_SV_SX_SW_SY_S18_SZ_EEENS5_IJS1I_SW_SX_S1J_S18_NSS_IJLi8EEEENSS_IJLi9ELi10EEEES12_EEENSS_IJLi8ELi9ELi10ELi11EEEElEENS5_IJNSB_INS5_IJSK_SO_SO_NSP_INS5_IJiNS23_IiLi2EEENS23_IiLi64EEEEEELb0EEES2T_EEENS5_IJST_SU_SV_SW_SX_EEENS5_IJS1I_SW_SX_NSS_IJLi5ELi6ELi7EEEENSS_IJLi8ELi9ELi10EEEEEEENSS_IJLi5ELi6ELi7ELi8ELi9ELi10EEEElEEEEES30_NS_31BlockToCTileMap_M00_N00_M01_N01ILi128ELi128ES1R_Lb0EEENS1_30ComputePtrOffsetOfStridedBatchILi1ELi1ELi1EvEELb1ELb1EEEvPKT0_S38_T1_PT2_T3_T4_T5_iT6_T7_T8_T9_T10_T11_.kd
    .uniform_work_group_size: 1
    .uses_dynamic_stack: false
    .vgpr_count:     242
    .vgpr_spill_count: 0
    .wavefront_size: 32
    .workgroup_processor_mode: 1
  - .args:
      - .address_space:  global
        .offset:         0
        .size:           8
        .value_kind:     global_buffer
      - .address_space:  global
        .offset:         8
        .size:           8
        .value_kind:     global_buffer
      - .address_space:  global
        .offset:         16
        .size:           8
        .value_kind:     global_buffer
      - .address_space:  global
        .offset:         24
        .size:           8
        .value_kind:     global_buffer
      - .offset:         32
        .size:           1
        .value_kind:     by_value
      - .offset:         33
        .size:           1
        .value_kind:     by_value
      - .offset:         34
        .size:           1
        .value_kind:     by_value
      - .offset:         36
        .size:           4
        .value_kind:     by_value
      - .offset:         40
        .size:           200
        .value_kind:     by_value
      - .offset:         240
        .size:           96
        .value_kind:     by_value
      - .offset:         336
        .size:           80
        .value_kind:     by_value
      - .offset:         416
        .size:           80
        .value_kind:     by_value
      - .offset:         496
        .size:           112
        .value_kind:     by_value
      - .offset:         608
        .size:           40
        .value_kind:     by_value
      - .offset:         648
        .size:           4
        .value_kind:     hidden_block_count_x
      - .offset:         652
        .size:           4
        .value_kind:     hidden_block_count_y
      - .offset:         656
        .size:           4
        .value_kind:     hidden_block_count_z
      - .offset:         660
        .size:           2
        .value_kind:     hidden_group_size_x
      - .offset:         662
        .size:           2
        .value_kind:     hidden_group_size_y
      - .offset:         664
        .size:           2
        .value_kind:     hidden_group_size_z
      - .offset:         666
        .size:           2
        .value_kind:     hidden_remainder_x
      - .offset:         668
        .size:           2
        .value_kind:     hidden_remainder_y
      - .offset:         670
        .size:           2
        .value_kind:     hidden_remainder_z
      - .offset:         688
        .size:           8
        .value_kind:     hidden_global_offset_x
      - .offset:         696
        .size:           8
        .value_kind:     hidden_global_offset_y
      - .offset:         704
        .size:           8
        .value_kind:     hidden_global_offset_z
      - .offset:         712
        .size:           2
        .value_kind:     hidden_grid_dims
    .group_segment_fixed_size: 32768
    .kernarg_segment_align: 8
    .kernarg_segment_size: 904
    .language:       OpenCL C
    .language_version:
      - 2
      - 0
    .max_flat_workgroup_size: 256
    .name:           _ZN2ck16tensor_operation6device12_GLOBAL__N_137kernel_grouped_conv_fwd_dl_multiple_dINS_32GridwiseGemmDlMultipleD_km_kn_mnILi256EffNS_5TupleIJfEEEfNS0_12element_wise11PassThroughES8_NS7_7AddReluELNS_25InMemoryDataOperationEnumE0ENS_16TensorDescriptorINS5_IJNS_5EmbedINS5_IJiiiEEESD_Lb0EEENS_11PassThroughIiEENS_3PadIiiiLb0EEESG_SG_NSC_INS5_IJiiEEESJ_Lb0EEESG_NS_23Merge_v2_magic_divisionISJ_EESM_NS_8RightPadIiiLb0EEESO_NS_7UnMergeISJ_Lb0EEESG_EEENS5_IJNS_8SequenceIJLi0EEEENSS_IJLi1EEEENSS_IJLi2EEEENSS_IJLi3EEEENSS_IJLi4EEEENSS_IJLi5EEEENSS_IJLi6EEEENSS_IJLi7ELi9EEEENSS_IJLi8ELi10EEEENSS_IJLi11EEEENSS_IJLi12EEEENSS_IJLi14EEEENSS_IJLi13EEEEEEENS5_IJNSS_IJLi1ELi2ELi3EEEESX_SY_SZ_NSS_IJLi7EEEENSS_IJLi8ELi9EEEENSS_IJLi10EEEES12_S13_S15_S14_NSS_IJLi15ELi16EEEENSS_IJLi17EEEEEEENSS_IJLi15ELi17ELi16EEEElEENSB_INS5_IJSQ_SO_SO_SQ_SG_EEENS5_IJST_SU_SV_SX_SW_EEENS5_IJNSS_IJLi1ELi2EEEESW_SX_NSS_IJLi5ELi6EEEES18_EEENSS_IJLi5ELi7ELi6EEEElEENSB_INS5_IJSK_SO_SO_EEENS5_IJST_SU_SV_EEENS5_IJS1I_SW_SX_EEENSS_IJLi3ELi4EEEElEELi128ELi128ELi16ELi1ELi4ELi4ELi1ENSS_IJLi8ELi2EEEES1S_NSS_IJLi8ELi1ELi1ELi1EEEENSS_IJLi2ELi1ELi128ELi1EEEENSS_IJLi1ELi2ELi0ELi3EEEES1V_NSS_IJLi4ELi1ELi1ELi1EEEES1V_NSS_IJLi1ELi1ELi1ELi1EEEES1T_S1U_S1V_S1V_S1W_S1V_S1X_NSS_IJLi0ELi1ELi2ELi3ELi4ELi5EEEELi5ELi4EEEfNS5_IJPKfEEEfS8_S8_S9_NSB_INS5_IJSE_SG_SI_SG_SG_SK_SG_SM_SM_SO_SO_SQ_SG_SG_NSP_INS5_IJiNS_17integral_constantIiLi128EEEEEELb0EEENSF_INS23_IiLi1EEEEEEEENS5_IJST_SU_SV_SW_SX_SY_SZ_S10_S11_S12_S13_S14_S15_NSS_IJLi15EEEES1C_NSS_IJLi16EEEEEEENS5_IJS17_SX_SY_SZ_S18_S19_S1A_S12_S13_S15_S14_S1B_S1C_NSS_IJLi18EEEENSS_IJLi19ELi20EEEENSS_IJLi21EEEEEEENSS_IJLi18ELi19ELi20ELi21EEEElEENSB_INS5_IJSQ_SO_SO_SQ_SG_SG_S26_S28_EEENS5_IJST_SU_SV_SX_SW_SY_S18_SZ_EEENS5_IJS1I_SW_SX_S1J_S18_NSS_IJLi8EEEENSS_IJLi9ELi10EEEES12_EEENSS_IJLi8ELi9ELi10ELi11EEEElEENS5_IJNSB_INS5_IJSK_SO_SO_NSP_INS5_IJiNS23_IiLi2EEENS23_IiLi64EEEEEELb0EEES2T_EEENS5_IJST_SU_SV_SW_SX_EEENS5_IJS1I_SW_SX_NSS_IJLi5ELi6ELi7EEEENSS_IJLi8ELi9ELi10EEEEEEENSS_IJLi5ELi6ELi7ELi8ELi9ELi10EEEElEEEEES30_NS_31BlockToCTileMap_M00_N00_M01_N01ILi128ELi128ES1R_Lb0EEENS1_30ComputePtrOffsetOfStridedBatchILi1ELi1ELi1EvEELb1ELb0EEEvPKT0_S38_T1_PT2_T3_T4_T5_iT6_T7_T8_T9_T10_T11_
    .private_segment_fixed_size: 576
    .sgpr_count:     78
    .sgpr_spill_count: 0
    .symbol:         _ZN2ck16tensor_operation6device12_GLOBAL__N_137kernel_grouped_conv_fwd_dl_multiple_dINS_32GridwiseGemmDlMultipleD_km_kn_mnILi256EffNS_5TupleIJfEEEfNS0_12element_wise11PassThroughES8_NS7_7AddReluELNS_25InMemoryDataOperationEnumE0ENS_16TensorDescriptorINS5_IJNS_5EmbedINS5_IJiiiEEESD_Lb0EEENS_11PassThroughIiEENS_3PadIiiiLb0EEESG_SG_NSC_INS5_IJiiEEESJ_Lb0EEESG_NS_23Merge_v2_magic_divisionISJ_EESM_NS_8RightPadIiiLb0EEESO_NS_7UnMergeISJ_Lb0EEESG_EEENS5_IJNS_8SequenceIJLi0EEEENSS_IJLi1EEEENSS_IJLi2EEEENSS_IJLi3EEEENSS_IJLi4EEEENSS_IJLi5EEEENSS_IJLi6EEEENSS_IJLi7ELi9EEEENSS_IJLi8ELi10EEEENSS_IJLi11EEEENSS_IJLi12EEEENSS_IJLi14EEEENSS_IJLi13EEEEEEENS5_IJNSS_IJLi1ELi2ELi3EEEESX_SY_SZ_NSS_IJLi7EEEENSS_IJLi8ELi9EEEENSS_IJLi10EEEES12_S13_S15_S14_NSS_IJLi15ELi16EEEENSS_IJLi17EEEEEEENSS_IJLi15ELi17ELi16EEEElEENSB_INS5_IJSQ_SO_SO_SQ_SG_EEENS5_IJST_SU_SV_SX_SW_EEENS5_IJNSS_IJLi1ELi2EEEESW_SX_NSS_IJLi5ELi6EEEES18_EEENSS_IJLi5ELi7ELi6EEEElEENSB_INS5_IJSK_SO_SO_EEENS5_IJST_SU_SV_EEENS5_IJS1I_SW_SX_EEENSS_IJLi3ELi4EEEElEELi128ELi128ELi16ELi1ELi4ELi4ELi1ENSS_IJLi8ELi2EEEES1S_NSS_IJLi8ELi1ELi1ELi1EEEENSS_IJLi2ELi1ELi128ELi1EEEENSS_IJLi1ELi2ELi0ELi3EEEES1V_NSS_IJLi4ELi1ELi1ELi1EEEES1V_NSS_IJLi1ELi1ELi1ELi1EEEES1T_S1U_S1V_S1V_S1W_S1V_S1X_NSS_IJLi0ELi1ELi2ELi3ELi4ELi5EEEELi5ELi4EEEfNS5_IJPKfEEEfS8_S8_S9_NSB_INS5_IJSE_SG_SI_SG_SG_SK_SG_SM_SM_SO_SO_SQ_SG_SG_NSP_INS5_IJiNS_17integral_constantIiLi128EEEEEELb0EEENSF_INS23_IiLi1EEEEEEEENS5_IJST_SU_SV_SW_SX_SY_SZ_S10_S11_S12_S13_S14_S15_NSS_IJLi15EEEES1C_NSS_IJLi16EEEEEEENS5_IJS17_SX_SY_SZ_S18_S19_S1A_S12_S13_S15_S14_S1B_S1C_NSS_IJLi18EEEENSS_IJLi19ELi20EEEENSS_IJLi21EEEEEEENSS_IJLi18ELi19ELi20ELi21EEEElEENSB_INS5_IJSQ_SO_SO_SQ_SG_SG_S26_S28_EEENS5_IJST_SU_SV_SX_SW_SY_S18_SZ_EEENS5_IJS1I_SW_SX_S1J_S18_NSS_IJLi8EEEENSS_IJLi9ELi10EEEES12_EEENSS_IJLi8ELi9ELi10ELi11EEEElEENS5_IJNSB_INS5_IJSK_SO_SO_NSP_INS5_IJiNS23_IiLi2EEENS23_IiLi64EEEEEELb0EEES2T_EEENS5_IJST_SU_SV_SW_SX_EEENS5_IJS1I_SW_SX_NSS_IJLi5ELi6ELi7EEEENSS_IJLi8ELi9ELi10EEEEEEENSS_IJLi5ELi6ELi7ELi8ELi9ELi10EEEElEEEEES30_NS_31BlockToCTileMap_M00_N00_M01_N01ILi128ELi128ES1R_Lb0EEENS1_30ComputePtrOffsetOfStridedBatchILi1ELi1ELi1EvEELb1ELb0EEEvPKT0_S38_T1_PT2_T3_T4_T5_iT6_T7_T8_T9_T10_T11_.kd
    .uniform_work_group_size: 1
    .uses_dynamic_stack: false
    .vgpr_count:     242
    .vgpr_spill_count: 0
    .wavefront_size: 32
    .workgroup_processor_mode: 1
  - .args:
      - .address_space:  global
        .offset:         0
        .size:           8
        .value_kind:     global_buffer
      - .address_space:  global
        .offset:         8
        .size:           8
        .value_kind:     global_buffer
      - .address_space:  global
        .offset:         16
        .size:           8
        .value_kind:     global_buffer
      - .address_space:  global
        .offset:         24
        .size:           8
        .value_kind:     global_buffer
      - .offset:         32
        .size:           1
        .value_kind:     by_value
      - .offset:         33
        .size:           1
        .value_kind:     by_value
      - .offset:         34
        .size:           1
        .value_kind:     by_value
      - .offset:         36
        .size:           4
        .value_kind:     by_value
      - .offset:         40
        .size:           200
        .value_kind:     by_value
      - .offset:         240
        .size:           96
        .value_kind:     by_value
      - .offset:         336
        .size:           80
        .value_kind:     by_value
      - .offset:         416
        .size:           80
        .value_kind:     by_value
      - .offset:         496
        .size:           112
        .value_kind:     by_value
      - .offset:         608
        .size:           40
        .value_kind:     by_value
      - .offset:         648
        .size:           4
        .value_kind:     hidden_block_count_x
      - .offset:         652
        .size:           4
        .value_kind:     hidden_block_count_y
      - .offset:         656
        .size:           4
        .value_kind:     hidden_block_count_z
      - .offset:         660
        .size:           2
        .value_kind:     hidden_group_size_x
      - .offset:         662
        .size:           2
        .value_kind:     hidden_group_size_y
      - .offset:         664
        .size:           2
        .value_kind:     hidden_group_size_z
      - .offset:         666
        .size:           2
        .value_kind:     hidden_remainder_x
      - .offset:         668
        .size:           2
        .value_kind:     hidden_remainder_y
      - .offset:         670
        .size:           2
        .value_kind:     hidden_remainder_z
      - .offset:         688
        .size:           8
        .value_kind:     hidden_global_offset_x
      - .offset:         696
        .size:           8
        .value_kind:     hidden_global_offset_y
      - .offset:         704
        .size:           8
        .value_kind:     hidden_global_offset_z
      - .offset:         712
        .size:           2
        .value_kind:     hidden_grid_dims
    .group_segment_fixed_size: 32768
    .kernarg_segment_align: 8
    .kernarg_segment_size: 904
    .language:       OpenCL C
    .language_version:
      - 2
      - 0
    .max_flat_workgroup_size: 256
    .name:           _ZN2ck16tensor_operation6device12_GLOBAL__N_137kernel_grouped_conv_fwd_dl_multiple_dINS_32GridwiseGemmDlMultipleD_km_kn_mnILi256EffNS_5TupleIJfEEEfNS0_12element_wise11PassThroughES8_NS7_7AddReluELNS_25InMemoryDataOperationEnumE0ENS_16TensorDescriptorINS5_IJNS_5EmbedINS5_IJiiiEEESD_Lb0EEENS_11PassThroughIiEENS_3PadIiiiLb0EEESG_SG_NSC_INS5_IJiiEEESJ_Lb0EEESG_NS_23Merge_v2_magic_divisionISJ_EESM_NS_8RightPadIiiLb0EEESO_NS_7UnMergeISJ_Lb0EEESG_EEENS5_IJNS_8SequenceIJLi0EEEENSS_IJLi1EEEENSS_IJLi2EEEENSS_IJLi3EEEENSS_IJLi4EEEENSS_IJLi5EEEENSS_IJLi6EEEENSS_IJLi7ELi9EEEENSS_IJLi8ELi10EEEENSS_IJLi11EEEENSS_IJLi12EEEENSS_IJLi14EEEENSS_IJLi13EEEEEEENS5_IJNSS_IJLi1ELi2ELi3EEEESX_SY_SZ_NSS_IJLi7EEEENSS_IJLi8ELi9EEEENSS_IJLi10EEEES12_S13_S15_S14_NSS_IJLi15ELi16EEEENSS_IJLi17EEEEEEENSS_IJLi15ELi17ELi16EEEElEENSB_INS5_IJSQ_SO_SO_SQ_SG_EEENS5_IJST_SU_SV_SX_SW_EEENS5_IJNSS_IJLi1ELi2EEEESW_SX_NSS_IJLi5ELi6EEEES18_EEENSS_IJLi5ELi7ELi6EEEElEENSB_INS5_IJSK_SO_SO_EEENS5_IJST_SU_SV_EEENS5_IJS1I_SW_SX_EEENSS_IJLi3ELi4EEEElEELi128ELi128ELi16ELi1ELi4ELi4ELi1ENSS_IJLi8ELi2EEEES1S_NSS_IJLi8ELi1ELi1ELi1EEEENSS_IJLi2ELi1ELi128ELi1EEEENSS_IJLi1ELi2ELi0ELi3EEEES1V_NSS_IJLi4ELi1ELi1ELi1EEEES1V_NSS_IJLi1ELi1ELi1ELi1EEEES1T_S1U_S1V_S1V_S1W_S1V_S1X_NSS_IJLi0ELi1ELi2ELi3ELi4ELi5EEEELi5ELi4EEEfNS5_IJPKfEEEfS8_S8_S9_NSB_INS5_IJSE_SG_SI_SG_SG_SK_SG_SM_SM_SO_SO_SQ_SG_SG_NSP_INS5_IJiNS_17integral_constantIiLi128EEEEEELb0EEENSF_INS23_IiLi1EEEEEEEENS5_IJST_SU_SV_SW_SX_SY_SZ_S10_S11_S12_S13_S14_S15_NSS_IJLi15EEEES1C_NSS_IJLi16EEEEEEENS5_IJS17_SX_SY_SZ_S18_S19_S1A_S12_S13_S15_S14_S1B_S1C_NSS_IJLi18EEEENSS_IJLi19ELi20EEEENSS_IJLi21EEEEEEENSS_IJLi18ELi19ELi20ELi21EEEElEENSB_INS5_IJSQ_SO_SO_SQ_SG_SG_S26_S28_EEENS5_IJST_SU_SV_SX_SW_SY_S18_SZ_EEENS5_IJS1I_SW_SX_S1J_S18_NSS_IJLi8EEEENSS_IJLi9ELi10EEEES12_EEENSS_IJLi8ELi9ELi10ELi11EEEElEENS5_IJNSB_INS5_IJSK_SO_SO_NSP_INS5_IJiNS23_IiLi2EEENS23_IiLi64EEEEEELb0EEES2T_EEENS5_IJST_SU_SV_SW_SX_EEENS5_IJS1I_SW_SX_NSS_IJLi5ELi6ELi7EEEENSS_IJLi8ELi9ELi10EEEEEEENSS_IJLi5ELi6ELi7ELi8ELi9ELi10EEEElEEEEES30_NS_31BlockToCTileMap_M00_N00_M01_N01ILi128ELi128ES1R_Lb0EEENS1_30ComputePtrOffsetOfStridedBatchILi1ELi1ELi1EvEELb0ELb1EEEvPKT0_S38_T1_PT2_T3_T4_T5_iT6_T7_T8_T9_T10_T11_
    .private_segment_fixed_size: 0
    .sgpr_count:     50
    .sgpr_spill_count: 0
    .symbol:         _ZN2ck16tensor_operation6device12_GLOBAL__N_137kernel_grouped_conv_fwd_dl_multiple_dINS_32GridwiseGemmDlMultipleD_km_kn_mnILi256EffNS_5TupleIJfEEEfNS0_12element_wise11PassThroughES8_NS7_7AddReluELNS_25InMemoryDataOperationEnumE0ENS_16TensorDescriptorINS5_IJNS_5EmbedINS5_IJiiiEEESD_Lb0EEENS_11PassThroughIiEENS_3PadIiiiLb0EEESG_SG_NSC_INS5_IJiiEEESJ_Lb0EEESG_NS_23Merge_v2_magic_divisionISJ_EESM_NS_8RightPadIiiLb0EEESO_NS_7UnMergeISJ_Lb0EEESG_EEENS5_IJNS_8SequenceIJLi0EEEENSS_IJLi1EEEENSS_IJLi2EEEENSS_IJLi3EEEENSS_IJLi4EEEENSS_IJLi5EEEENSS_IJLi6EEEENSS_IJLi7ELi9EEEENSS_IJLi8ELi10EEEENSS_IJLi11EEEENSS_IJLi12EEEENSS_IJLi14EEEENSS_IJLi13EEEEEEENS5_IJNSS_IJLi1ELi2ELi3EEEESX_SY_SZ_NSS_IJLi7EEEENSS_IJLi8ELi9EEEENSS_IJLi10EEEES12_S13_S15_S14_NSS_IJLi15ELi16EEEENSS_IJLi17EEEEEEENSS_IJLi15ELi17ELi16EEEElEENSB_INS5_IJSQ_SO_SO_SQ_SG_EEENS5_IJST_SU_SV_SX_SW_EEENS5_IJNSS_IJLi1ELi2EEEESW_SX_NSS_IJLi5ELi6EEEES18_EEENSS_IJLi5ELi7ELi6EEEElEENSB_INS5_IJSK_SO_SO_EEENS5_IJST_SU_SV_EEENS5_IJS1I_SW_SX_EEENSS_IJLi3ELi4EEEElEELi128ELi128ELi16ELi1ELi4ELi4ELi1ENSS_IJLi8ELi2EEEES1S_NSS_IJLi8ELi1ELi1ELi1EEEENSS_IJLi2ELi1ELi128ELi1EEEENSS_IJLi1ELi2ELi0ELi3EEEES1V_NSS_IJLi4ELi1ELi1ELi1EEEES1V_NSS_IJLi1ELi1ELi1ELi1EEEES1T_S1U_S1V_S1V_S1W_S1V_S1X_NSS_IJLi0ELi1ELi2ELi3ELi4ELi5EEEELi5ELi4EEEfNS5_IJPKfEEEfS8_S8_S9_NSB_INS5_IJSE_SG_SI_SG_SG_SK_SG_SM_SM_SO_SO_SQ_SG_SG_NSP_INS5_IJiNS_17integral_constantIiLi128EEEEEELb0EEENSF_INS23_IiLi1EEEEEEEENS5_IJST_SU_SV_SW_SX_SY_SZ_S10_S11_S12_S13_S14_S15_NSS_IJLi15EEEES1C_NSS_IJLi16EEEEEEENS5_IJS17_SX_SY_SZ_S18_S19_S1A_S12_S13_S15_S14_S1B_S1C_NSS_IJLi18EEEENSS_IJLi19ELi20EEEENSS_IJLi21EEEEEEENSS_IJLi18ELi19ELi20ELi21EEEElEENSB_INS5_IJSQ_SO_SO_SQ_SG_SG_S26_S28_EEENS5_IJST_SU_SV_SX_SW_SY_S18_SZ_EEENS5_IJS1I_SW_SX_S1J_S18_NSS_IJLi8EEEENSS_IJLi9ELi10EEEES12_EEENSS_IJLi8ELi9ELi10ELi11EEEElEENS5_IJNSB_INS5_IJSK_SO_SO_NSP_INS5_IJiNS23_IiLi2EEENS23_IiLi64EEEEEELb0EEES2T_EEENS5_IJST_SU_SV_SW_SX_EEENS5_IJS1I_SW_SX_NSS_IJLi5ELi6ELi7EEEENSS_IJLi8ELi9ELi10EEEEEEENSS_IJLi5ELi6ELi7ELi8ELi9ELi10EEEElEEEEES30_NS_31BlockToCTileMap_M00_N00_M01_N01ILi128ELi128ES1R_Lb0EEENS1_30ComputePtrOffsetOfStridedBatchILi1ELi1ELi1EvEELb0ELb1EEEvPKT0_S38_T1_PT2_T3_T4_T5_iT6_T7_T8_T9_T10_T11_.kd
    .uniform_work_group_size: 1
    .uses_dynamic_stack: false
    .vgpr_count:     132
    .vgpr_spill_count: 0
    .wavefront_size: 32
    .workgroup_processor_mode: 1
  - .args:
      - .address_space:  global
        .offset:         0
        .size:           8
        .value_kind:     global_buffer
      - .address_space:  global
        .offset:         8
        .size:           8
        .value_kind:     global_buffer
      - .address_space:  global
        .offset:         16
        .size:           8
        .value_kind:     global_buffer
      - .address_space:  global
        .offset:         24
        .size:           8
        .value_kind:     global_buffer
      - .offset:         32
        .size:           1
        .value_kind:     by_value
      - .offset:         33
        .size:           1
        .value_kind:     by_value
      - .offset:         34
        .size:           1
        .value_kind:     by_value
      - .offset:         36
        .size:           4
        .value_kind:     by_value
      - .offset:         40
        .size:           200
        .value_kind:     by_value
      - .offset:         240
        .size:           96
        .value_kind:     by_value
      - .offset:         336
        .size:           80
        .value_kind:     by_value
      - .offset:         416
        .size:           80
        .value_kind:     by_value
      - .offset:         496
        .size:           112
        .value_kind:     by_value
      - .offset:         608
        .size:           40
        .value_kind:     by_value
      - .offset:         648
        .size:           4
        .value_kind:     hidden_block_count_x
      - .offset:         652
        .size:           4
        .value_kind:     hidden_block_count_y
      - .offset:         656
        .size:           4
        .value_kind:     hidden_block_count_z
      - .offset:         660
        .size:           2
        .value_kind:     hidden_group_size_x
      - .offset:         662
        .size:           2
        .value_kind:     hidden_group_size_y
      - .offset:         664
        .size:           2
        .value_kind:     hidden_group_size_z
      - .offset:         666
        .size:           2
        .value_kind:     hidden_remainder_x
      - .offset:         668
        .size:           2
        .value_kind:     hidden_remainder_y
      - .offset:         670
        .size:           2
        .value_kind:     hidden_remainder_z
      - .offset:         688
        .size:           8
        .value_kind:     hidden_global_offset_x
      - .offset:         696
        .size:           8
        .value_kind:     hidden_global_offset_y
      - .offset:         704
        .size:           8
        .value_kind:     hidden_global_offset_z
      - .offset:         712
        .size:           2
        .value_kind:     hidden_grid_dims
    .group_segment_fixed_size: 32768
    .kernarg_segment_align: 8
    .kernarg_segment_size: 904
    .language:       OpenCL C
    .language_version:
      - 2
      - 0
    .max_flat_workgroup_size: 256
    .name:           _ZN2ck16tensor_operation6device12_GLOBAL__N_137kernel_grouped_conv_fwd_dl_multiple_dINS_32GridwiseGemmDlMultipleD_km_kn_mnILi256EffNS_5TupleIJfEEEfNS0_12element_wise11PassThroughES8_NS7_7AddReluELNS_25InMemoryDataOperationEnumE0ENS_16TensorDescriptorINS5_IJNS_5EmbedINS5_IJiiiEEESD_Lb0EEENS_11PassThroughIiEENS_3PadIiiiLb0EEESG_SG_NSC_INS5_IJiiEEESJ_Lb0EEESG_NS_23Merge_v2_magic_divisionISJ_EESM_NS_8RightPadIiiLb0EEESO_NS_7UnMergeISJ_Lb0EEESG_EEENS5_IJNS_8SequenceIJLi0EEEENSS_IJLi1EEEENSS_IJLi2EEEENSS_IJLi3EEEENSS_IJLi4EEEENSS_IJLi5EEEENSS_IJLi6EEEENSS_IJLi7ELi9EEEENSS_IJLi8ELi10EEEENSS_IJLi11EEEENSS_IJLi12EEEENSS_IJLi14EEEENSS_IJLi13EEEEEEENS5_IJNSS_IJLi1ELi2ELi3EEEESX_SY_SZ_NSS_IJLi7EEEENSS_IJLi8ELi9EEEENSS_IJLi10EEEES12_S13_S15_S14_NSS_IJLi15ELi16EEEENSS_IJLi17EEEEEEENSS_IJLi15ELi17ELi16EEEElEENSB_INS5_IJSQ_SO_SO_SQ_SG_EEENS5_IJST_SU_SV_SX_SW_EEENS5_IJNSS_IJLi1ELi2EEEESW_SX_NSS_IJLi5ELi6EEEES18_EEENSS_IJLi5ELi7ELi6EEEElEENSB_INS5_IJSK_SO_SO_EEENS5_IJST_SU_SV_EEENS5_IJS1I_SW_SX_EEENSS_IJLi3ELi4EEEElEELi128ELi128ELi16ELi1ELi4ELi4ELi1ENSS_IJLi8ELi2EEEES1S_NSS_IJLi8ELi1ELi1ELi1EEEENSS_IJLi2ELi1ELi128ELi1EEEENSS_IJLi1ELi2ELi0ELi3EEEES1V_NSS_IJLi4ELi1ELi1ELi1EEEES1V_NSS_IJLi1ELi1ELi1ELi1EEEES1T_S1U_S1V_S1V_S1W_S1V_S1X_NSS_IJLi0ELi1ELi2ELi3ELi4ELi5EEEELi5ELi4EEEfNS5_IJPKfEEEfS8_S8_S9_NSB_INS5_IJSE_SG_SI_SG_SG_SK_SG_SM_SM_SO_SO_SQ_SG_SG_NSP_INS5_IJiNS_17integral_constantIiLi128EEEEEELb0EEENSF_INS23_IiLi1EEEEEEEENS5_IJST_SU_SV_SW_SX_SY_SZ_S10_S11_S12_S13_S14_S15_NSS_IJLi15EEEES1C_NSS_IJLi16EEEEEEENS5_IJS17_SX_SY_SZ_S18_S19_S1A_S12_S13_S15_S14_S1B_S1C_NSS_IJLi18EEEENSS_IJLi19ELi20EEEENSS_IJLi21EEEEEEENSS_IJLi18ELi19ELi20ELi21EEEElEENSB_INS5_IJSQ_SO_SO_SQ_SG_SG_S26_S28_EEENS5_IJST_SU_SV_SX_SW_SY_S18_SZ_EEENS5_IJS1I_SW_SX_S1J_S18_NSS_IJLi8EEEENSS_IJLi9ELi10EEEES12_EEENSS_IJLi8ELi9ELi10ELi11EEEElEENS5_IJNSB_INS5_IJSK_SO_SO_NSP_INS5_IJiNS23_IiLi2EEENS23_IiLi64EEEEEELb0EEES2T_EEENS5_IJST_SU_SV_SW_SX_EEENS5_IJS1I_SW_SX_NSS_IJLi5ELi6ELi7EEEENSS_IJLi8ELi9ELi10EEEEEEENSS_IJLi5ELi6ELi7ELi8ELi9ELi10EEEElEEEEES30_NS_31BlockToCTileMap_M00_N00_M01_N01ILi128ELi128ES1R_Lb0EEENS1_30ComputePtrOffsetOfStridedBatchILi1ELi1ELi1EvEELb0ELb0EEEvPKT0_S38_T1_PT2_T3_T4_T5_iT6_T7_T8_T9_T10_T11_
    .private_segment_fixed_size: 0
    .sgpr_count:     46
    .sgpr_spill_count: 0
    .symbol:         _ZN2ck16tensor_operation6device12_GLOBAL__N_137kernel_grouped_conv_fwd_dl_multiple_dINS_32GridwiseGemmDlMultipleD_km_kn_mnILi256EffNS_5TupleIJfEEEfNS0_12element_wise11PassThroughES8_NS7_7AddReluELNS_25InMemoryDataOperationEnumE0ENS_16TensorDescriptorINS5_IJNS_5EmbedINS5_IJiiiEEESD_Lb0EEENS_11PassThroughIiEENS_3PadIiiiLb0EEESG_SG_NSC_INS5_IJiiEEESJ_Lb0EEESG_NS_23Merge_v2_magic_divisionISJ_EESM_NS_8RightPadIiiLb0EEESO_NS_7UnMergeISJ_Lb0EEESG_EEENS5_IJNS_8SequenceIJLi0EEEENSS_IJLi1EEEENSS_IJLi2EEEENSS_IJLi3EEEENSS_IJLi4EEEENSS_IJLi5EEEENSS_IJLi6EEEENSS_IJLi7ELi9EEEENSS_IJLi8ELi10EEEENSS_IJLi11EEEENSS_IJLi12EEEENSS_IJLi14EEEENSS_IJLi13EEEEEEENS5_IJNSS_IJLi1ELi2ELi3EEEESX_SY_SZ_NSS_IJLi7EEEENSS_IJLi8ELi9EEEENSS_IJLi10EEEES12_S13_S15_S14_NSS_IJLi15ELi16EEEENSS_IJLi17EEEEEEENSS_IJLi15ELi17ELi16EEEElEENSB_INS5_IJSQ_SO_SO_SQ_SG_EEENS5_IJST_SU_SV_SX_SW_EEENS5_IJNSS_IJLi1ELi2EEEESW_SX_NSS_IJLi5ELi6EEEES18_EEENSS_IJLi5ELi7ELi6EEEElEENSB_INS5_IJSK_SO_SO_EEENS5_IJST_SU_SV_EEENS5_IJS1I_SW_SX_EEENSS_IJLi3ELi4EEEElEELi128ELi128ELi16ELi1ELi4ELi4ELi1ENSS_IJLi8ELi2EEEES1S_NSS_IJLi8ELi1ELi1ELi1EEEENSS_IJLi2ELi1ELi128ELi1EEEENSS_IJLi1ELi2ELi0ELi3EEEES1V_NSS_IJLi4ELi1ELi1ELi1EEEES1V_NSS_IJLi1ELi1ELi1ELi1EEEES1T_S1U_S1V_S1V_S1W_S1V_S1X_NSS_IJLi0ELi1ELi2ELi3ELi4ELi5EEEELi5ELi4EEEfNS5_IJPKfEEEfS8_S8_S9_NSB_INS5_IJSE_SG_SI_SG_SG_SK_SG_SM_SM_SO_SO_SQ_SG_SG_NSP_INS5_IJiNS_17integral_constantIiLi128EEEEEELb0EEENSF_INS23_IiLi1EEEEEEEENS5_IJST_SU_SV_SW_SX_SY_SZ_S10_S11_S12_S13_S14_S15_NSS_IJLi15EEEES1C_NSS_IJLi16EEEEEEENS5_IJS17_SX_SY_SZ_S18_S19_S1A_S12_S13_S15_S14_S1B_S1C_NSS_IJLi18EEEENSS_IJLi19ELi20EEEENSS_IJLi21EEEEEEENSS_IJLi18ELi19ELi20ELi21EEEElEENSB_INS5_IJSQ_SO_SO_SQ_SG_SG_S26_S28_EEENS5_IJST_SU_SV_SX_SW_SY_S18_SZ_EEENS5_IJS1I_SW_SX_S1J_S18_NSS_IJLi8EEEENSS_IJLi9ELi10EEEES12_EEENSS_IJLi8ELi9ELi10ELi11EEEElEENS5_IJNSB_INS5_IJSK_SO_SO_NSP_INS5_IJiNS23_IiLi2EEENS23_IiLi64EEEEEELb0EEES2T_EEENS5_IJST_SU_SV_SW_SX_EEENS5_IJS1I_SW_SX_NSS_IJLi5ELi6ELi7EEEENSS_IJLi8ELi9ELi10EEEEEEENSS_IJLi5ELi6ELi7ELi8ELi9ELi10EEEElEEEEES30_NS_31BlockToCTileMap_M00_N00_M01_N01ILi128ELi128ES1R_Lb0EEENS1_30ComputePtrOffsetOfStridedBatchILi1ELi1ELi1EvEELb0ELb0EEEvPKT0_S38_T1_PT2_T3_T4_T5_iT6_T7_T8_T9_T10_T11_.kd
    .uniform_work_group_size: 1
    .uses_dynamic_stack: false
    .vgpr_count:     132
    .vgpr_spill_count: 0
    .wavefront_size: 32
    .workgroup_processor_mode: 1
  - .args:
      - .address_space:  global
        .offset:         0
        .size:           8
        .value_kind:     global_buffer
      - .address_space:  global
        .offset:         8
        .size:           8
        .value_kind:     global_buffer
      - .address_space:  global
        .offset:         16
        .size:           8
        .value_kind:     global_buffer
      - .address_space:  global
        .offset:         24
        .size:           8
        .value_kind:     global_buffer
      - .offset:         32
        .size:           1
        .value_kind:     by_value
      - .offset:         33
        .size:           1
        .value_kind:     by_value
      - .offset:         34
        .size:           1
        .value_kind:     by_value
      - .offset:         36
        .size:           4
        .value_kind:     by_value
      - .offset:         40
        .size:           264
        .value_kind:     by_value
      - .offset:         304
        .size:           96
        .value_kind:     by_value
      - .offset:         400
        .size:           80
        .value_kind:     by_value
      - .offset:         480
        .size:           80
        .value_kind:     by_value
      - .offset:         560
        .size:           112
        .value_kind:     by_value
      - .offset:         672
        .size:           40
        .value_kind:     by_value
      - .offset:         712
        .size:           4
        .value_kind:     hidden_block_count_x
      - .offset:         716
        .size:           4
        .value_kind:     hidden_block_count_y
      - .offset:         720
        .size:           4
        .value_kind:     hidden_block_count_z
      - .offset:         724
        .size:           2
        .value_kind:     hidden_group_size_x
      - .offset:         726
        .size:           2
        .value_kind:     hidden_group_size_y
      - .offset:         728
        .size:           2
        .value_kind:     hidden_group_size_z
      - .offset:         730
        .size:           2
        .value_kind:     hidden_remainder_x
      - .offset:         732
        .size:           2
        .value_kind:     hidden_remainder_y
      - .offset:         734
        .size:           2
        .value_kind:     hidden_remainder_z
      - .offset:         752
        .size:           8
        .value_kind:     hidden_global_offset_x
      - .offset:         760
        .size:           8
        .value_kind:     hidden_global_offset_y
      - .offset:         768
        .size:           8
        .value_kind:     hidden_global_offset_z
      - .offset:         776
        .size:           2
        .value_kind:     hidden_grid_dims
    .group_segment_fixed_size: 32768
    .kernarg_segment_align: 8
    .kernarg_segment_size: 968
    .language:       OpenCL C
    .language_version:
      - 2
      - 0
    .max_flat_workgroup_size: 256
    .name:           _ZN2ck16tensor_operation6device12_GLOBAL__N_137kernel_grouped_conv_fwd_dl_multiple_dINS_32GridwiseGemmDlMultipleD_km_kn_mnILi256EffNS_5TupleIJfEEEfNS0_12element_wise11PassThroughES8_NS7_7AddReluELNS_25InMemoryDataOperationEnumE0ENS_16TensorDescriptorINS5_IJNS_5EmbedINS5_IJiiiiEEESD_Lb0EEENS_11PassThroughIiEENS_3PadIiiiLb0EEESI_SG_SG_NSC_INS5_IJiiEEESJ_Lb0EEESK_SG_NS_23Merge_v2_magic_divisionINS5_IJiiiEEEEESN_NS_8RightPadIiiLb0EEESP_NS_7UnMergeISJ_Lb0EEESG_EEENS5_IJNS_8SequenceIJLi0EEEENST_IJLi1EEEENST_IJLi2EEEENST_IJLi3EEEENST_IJLi4EEEENST_IJLi5EEEENST_IJLi6EEEENST_IJLi7EEEENST_IJLi8EEEENST_IJLi9ELi11ELi13EEEENST_IJLi10ELi12ELi14EEEENST_IJLi15EEEENST_IJLi16EEEENST_IJLi18EEEENST_IJLi17EEEEEEENS5_IJNST_IJLi1ELi2ELi3ELi4EEEESZ_S10_S11_S12_NST_IJLi9EEEENST_IJLi10ELi11EEEENST_IJLi12ELi13EEEENST_IJLi14EEEES15_S16_S18_S17_NST_IJLi19ELi20EEEENST_IJLi21EEEEEEENST_IJLi19ELi21ELi20EEEElEENSB_INS5_IJSR_SP_SP_SR_SG_EEENS5_IJSU_SV_SW_SY_SX_EEENS5_IJNST_IJLi1ELi2EEEESX_SY_NST_IJLi5ELi6EEEES11_EEENST_IJLi5ELi7ELi6EEEElEENSB_INS5_IJSK_SP_SP_EEENS5_IJSU_SV_SW_EEENS5_IJS1M_SX_SY_EEENST_IJLi3ELi4EEEElEELi128ELi128ELi16ELi1ELi4ELi4ELi1ENST_IJLi8ELi2EEEES1W_NST_IJLi8ELi1ELi1ELi1EEEENST_IJLi2ELi1ELi128ELi1EEEENST_IJLi1ELi2ELi0ELi3EEEES1Z_NST_IJLi4ELi1ELi1ELi1EEEES1Z_NST_IJLi1ELi1ELi1ELi1EEEES1X_S1Y_S1Z_S1Z_S20_S1Z_S21_NST_IJLi0ELi1ELi2ELi3ELi4ELi5EEEELi5ELi4EEEfNS5_IJPKfEEEfS8_S8_S9_NSB_INS5_IJSE_SG_SI_SI_SG_SG_SK_SK_SG_SN_SN_SP_SP_SR_SG_SG_NSQ_INS5_IJiNS_17integral_constantIiLi128EEEEEELb0EEENSF_INS27_IiLi1EEEEEEEENS5_IJSU_SV_SW_SX_SY_SZ_S10_S11_S12_S13_S14_S15_S16_S17_S18_NST_IJLi19EEEES1G_NST_IJLi20EEEEEEENS5_IJS1A_SZ_S10_S11_S12_S1B_S1C_S1D_S1E_S15_S16_S18_S17_S1F_S1G_NST_IJLi22EEEENST_IJLi23ELi24EEEENST_IJLi25EEEEEEENST_IJLi22ELi23ELi24ELi25EEEElEENSB_INS5_IJSR_SP_SP_SR_SG_SG_S2A_S2C_EEENS5_IJSU_SV_SW_SY_SX_SZ_S11_S10_EEENS5_IJS1M_SX_SY_S1N_S11_S12_NST_IJLi9ELi10EEEENST_IJLi11EEEEEEENST_IJLi8ELi9ELi10ELi11EEEElEENS5_IJNSB_INS5_IJSK_SP_SP_NSQ_INS5_IJiNS27_IiLi2EEENS27_IiLi64EEEEEELb0EEES2X_EEENS5_IJSU_SV_SW_SX_SY_EEENS5_IJS1M_SX_SY_NST_IJLi5ELi6ELi7EEEENST_IJLi8ELi9ELi10EEEEEEENST_IJLi5ELi6ELi7ELi8ELi9ELi10EEEElEEEEES34_NS_31BlockToCTileMap_M00_N00_M01_N01ILi128ELi128ES1V_Lb0EEENS1_30ComputePtrOffsetOfStridedBatchILi1ELi1ELi1EvEELb1ELb1EEEvPKT0_S3C_T1_PT2_T3_T4_T5_iT6_T7_T8_T9_T10_T11_
    .private_segment_fixed_size: 640
    .sgpr_count:     86
    .sgpr_spill_count: 0
    .symbol:         _ZN2ck16tensor_operation6device12_GLOBAL__N_137kernel_grouped_conv_fwd_dl_multiple_dINS_32GridwiseGemmDlMultipleD_km_kn_mnILi256EffNS_5TupleIJfEEEfNS0_12element_wise11PassThroughES8_NS7_7AddReluELNS_25InMemoryDataOperationEnumE0ENS_16TensorDescriptorINS5_IJNS_5EmbedINS5_IJiiiiEEESD_Lb0EEENS_11PassThroughIiEENS_3PadIiiiLb0EEESI_SG_SG_NSC_INS5_IJiiEEESJ_Lb0EEESK_SG_NS_23Merge_v2_magic_divisionINS5_IJiiiEEEEESN_NS_8RightPadIiiLb0EEESP_NS_7UnMergeISJ_Lb0EEESG_EEENS5_IJNS_8SequenceIJLi0EEEENST_IJLi1EEEENST_IJLi2EEEENST_IJLi3EEEENST_IJLi4EEEENST_IJLi5EEEENST_IJLi6EEEENST_IJLi7EEEENST_IJLi8EEEENST_IJLi9ELi11ELi13EEEENST_IJLi10ELi12ELi14EEEENST_IJLi15EEEENST_IJLi16EEEENST_IJLi18EEEENST_IJLi17EEEEEEENS5_IJNST_IJLi1ELi2ELi3ELi4EEEESZ_S10_S11_S12_NST_IJLi9EEEENST_IJLi10ELi11EEEENST_IJLi12ELi13EEEENST_IJLi14EEEES15_S16_S18_S17_NST_IJLi19ELi20EEEENST_IJLi21EEEEEEENST_IJLi19ELi21ELi20EEEElEENSB_INS5_IJSR_SP_SP_SR_SG_EEENS5_IJSU_SV_SW_SY_SX_EEENS5_IJNST_IJLi1ELi2EEEESX_SY_NST_IJLi5ELi6EEEES11_EEENST_IJLi5ELi7ELi6EEEElEENSB_INS5_IJSK_SP_SP_EEENS5_IJSU_SV_SW_EEENS5_IJS1M_SX_SY_EEENST_IJLi3ELi4EEEElEELi128ELi128ELi16ELi1ELi4ELi4ELi1ENST_IJLi8ELi2EEEES1W_NST_IJLi8ELi1ELi1ELi1EEEENST_IJLi2ELi1ELi128ELi1EEEENST_IJLi1ELi2ELi0ELi3EEEES1Z_NST_IJLi4ELi1ELi1ELi1EEEES1Z_NST_IJLi1ELi1ELi1ELi1EEEES1X_S1Y_S1Z_S1Z_S20_S1Z_S21_NST_IJLi0ELi1ELi2ELi3ELi4ELi5EEEELi5ELi4EEEfNS5_IJPKfEEEfS8_S8_S9_NSB_INS5_IJSE_SG_SI_SI_SG_SG_SK_SK_SG_SN_SN_SP_SP_SR_SG_SG_NSQ_INS5_IJiNS_17integral_constantIiLi128EEEEEELb0EEENSF_INS27_IiLi1EEEEEEEENS5_IJSU_SV_SW_SX_SY_SZ_S10_S11_S12_S13_S14_S15_S16_S17_S18_NST_IJLi19EEEES1G_NST_IJLi20EEEEEEENS5_IJS1A_SZ_S10_S11_S12_S1B_S1C_S1D_S1E_S15_S16_S18_S17_S1F_S1G_NST_IJLi22EEEENST_IJLi23ELi24EEEENST_IJLi25EEEEEEENST_IJLi22ELi23ELi24ELi25EEEElEENSB_INS5_IJSR_SP_SP_SR_SG_SG_S2A_S2C_EEENS5_IJSU_SV_SW_SY_SX_SZ_S11_S10_EEENS5_IJS1M_SX_SY_S1N_S11_S12_NST_IJLi9ELi10EEEENST_IJLi11EEEEEEENST_IJLi8ELi9ELi10ELi11EEEElEENS5_IJNSB_INS5_IJSK_SP_SP_NSQ_INS5_IJiNS27_IiLi2EEENS27_IiLi64EEEEEELb0EEES2X_EEENS5_IJSU_SV_SW_SX_SY_EEENS5_IJS1M_SX_SY_NST_IJLi5ELi6ELi7EEEENST_IJLi8ELi9ELi10EEEEEEENST_IJLi5ELi6ELi7ELi8ELi9ELi10EEEElEEEEES34_NS_31BlockToCTileMap_M00_N00_M01_N01ILi128ELi128ES1V_Lb0EEENS1_30ComputePtrOffsetOfStridedBatchILi1ELi1ELi1EvEELb1ELb1EEEvPKT0_S3C_T1_PT2_T3_T4_T5_iT6_T7_T8_T9_T10_T11_.kd
    .uniform_work_group_size: 1
    .uses_dynamic_stack: false
    .vgpr_count:     248
    .vgpr_spill_count: 0
    .wavefront_size: 32
    .workgroup_processor_mode: 1
  - .args:
      - .address_space:  global
        .offset:         0
        .size:           8
        .value_kind:     global_buffer
      - .address_space:  global
        .offset:         8
        .size:           8
        .value_kind:     global_buffer
      - .address_space:  global
        .offset:         16
        .size:           8
        .value_kind:     global_buffer
      - .address_space:  global
        .offset:         24
        .size:           8
        .value_kind:     global_buffer
      - .offset:         32
        .size:           1
        .value_kind:     by_value
      - .offset:         33
        .size:           1
        .value_kind:     by_value
      - .offset:         34
        .size:           1
        .value_kind:     by_value
      - .offset:         36
        .size:           4
        .value_kind:     by_value
      - .offset:         40
        .size:           264
        .value_kind:     by_value
      - .offset:         304
        .size:           96
        .value_kind:     by_value
      - .offset:         400
        .size:           80
        .value_kind:     by_value
      - .offset:         480
        .size:           80
        .value_kind:     by_value
      - .offset:         560
        .size:           112
        .value_kind:     by_value
      - .offset:         672
        .size:           40
        .value_kind:     by_value
      - .offset:         712
        .size:           4
        .value_kind:     hidden_block_count_x
      - .offset:         716
        .size:           4
        .value_kind:     hidden_block_count_y
      - .offset:         720
        .size:           4
        .value_kind:     hidden_block_count_z
      - .offset:         724
        .size:           2
        .value_kind:     hidden_group_size_x
      - .offset:         726
        .size:           2
        .value_kind:     hidden_group_size_y
      - .offset:         728
        .size:           2
        .value_kind:     hidden_group_size_z
      - .offset:         730
        .size:           2
        .value_kind:     hidden_remainder_x
      - .offset:         732
        .size:           2
        .value_kind:     hidden_remainder_y
      - .offset:         734
        .size:           2
        .value_kind:     hidden_remainder_z
      - .offset:         752
        .size:           8
        .value_kind:     hidden_global_offset_x
      - .offset:         760
        .size:           8
        .value_kind:     hidden_global_offset_y
      - .offset:         768
        .size:           8
        .value_kind:     hidden_global_offset_z
      - .offset:         776
        .size:           2
        .value_kind:     hidden_grid_dims
    .group_segment_fixed_size: 32768
    .kernarg_segment_align: 8
    .kernarg_segment_size: 968
    .language:       OpenCL C
    .language_version:
      - 2
      - 0
    .max_flat_workgroup_size: 256
    .name:           _ZN2ck16tensor_operation6device12_GLOBAL__N_137kernel_grouped_conv_fwd_dl_multiple_dINS_32GridwiseGemmDlMultipleD_km_kn_mnILi256EffNS_5TupleIJfEEEfNS0_12element_wise11PassThroughES8_NS7_7AddReluELNS_25InMemoryDataOperationEnumE0ENS_16TensorDescriptorINS5_IJNS_5EmbedINS5_IJiiiiEEESD_Lb0EEENS_11PassThroughIiEENS_3PadIiiiLb0EEESI_SG_SG_NSC_INS5_IJiiEEESJ_Lb0EEESK_SG_NS_23Merge_v2_magic_divisionINS5_IJiiiEEEEESN_NS_8RightPadIiiLb0EEESP_NS_7UnMergeISJ_Lb0EEESG_EEENS5_IJNS_8SequenceIJLi0EEEENST_IJLi1EEEENST_IJLi2EEEENST_IJLi3EEEENST_IJLi4EEEENST_IJLi5EEEENST_IJLi6EEEENST_IJLi7EEEENST_IJLi8EEEENST_IJLi9ELi11ELi13EEEENST_IJLi10ELi12ELi14EEEENST_IJLi15EEEENST_IJLi16EEEENST_IJLi18EEEENST_IJLi17EEEEEEENS5_IJNST_IJLi1ELi2ELi3ELi4EEEESZ_S10_S11_S12_NST_IJLi9EEEENST_IJLi10ELi11EEEENST_IJLi12ELi13EEEENST_IJLi14EEEES15_S16_S18_S17_NST_IJLi19ELi20EEEENST_IJLi21EEEEEEENST_IJLi19ELi21ELi20EEEElEENSB_INS5_IJSR_SP_SP_SR_SG_EEENS5_IJSU_SV_SW_SY_SX_EEENS5_IJNST_IJLi1ELi2EEEESX_SY_NST_IJLi5ELi6EEEES11_EEENST_IJLi5ELi7ELi6EEEElEENSB_INS5_IJSK_SP_SP_EEENS5_IJSU_SV_SW_EEENS5_IJS1M_SX_SY_EEENST_IJLi3ELi4EEEElEELi128ELi128ELi16ELi1ELi4ELi4ELi1ENST_IJLi8ELi2EEEES1W_NST_IJLi8ELi1ELi1ELi1EEEENST_IJLi2ELi1ELi128ELi1EEEENST_IJLi1ELi2ELi0ELi3EEEES1Z_NST_IJLi4ELi1ELi1ELi1EEEES1Z_NST_IJLi1ELi1ELi1ELi1EEEES1X_S1Y_S1Z_S1Z_S20_S1Z_S21_NST_IJLi0ELi1ELi2ELi3ELi4ELi5EEEELi5ELi4EEEfNS5_IJPKfEEEfS8_S8_S9_NSB_INS5_IJSE_SG_SI_SI_SG_SG_SK_SK_SG_SN_SN_SP_SP_SR_SG_SG_NSQ_INS5_IJiNS_17integral_constantIiLi128EEEEEELb0EEENSF_INS27_IiLi1EEEEEEEENS5_IJSU_SV_SW_SX_SY_SZ_S10_S11_S12_S13_S14_S15_S16_S17_S18_NST_IJLi19EEEES1G_NST_IJLi20EEEEEEENS5_IJS1A_SZ_S10_S11_S12_S1B_S1C_S1D_S1E_S15_S16_S18_S17_S1F_S1G_NST_IJLi22EEEENST_IJLi23ELi24EEEENST_IJLi25EEEEEEENST_IJLi22ELi23ELi24ELi25EEEElEENSB_INS5_IJSR_SP_SP_SR_SG_SG_S2A_S2C_EEENS5_IJSU_SV_SW_SY_SX_SZ_S11_S10_EEENS5_IJS1M_SX_SY_S1N_S11_S12_NST_IJLi9ELi10EEEENST_IJLi11EEEEEEENST_IJLi8ELi9ELi10ELi11EEEElEENS5_IJNSB_INS5_IJSK_SP_SP_NSQ_INS5_IJiNS27_IiLi2EEENS27_IiLi64EEEEEELb0EEES2X_EEENS5_IJSU_SV_SW_SX_SY_EEENS5_IJS1M_SX_SY_NST_IJLi5ELi6ELi7EEEENST_IJLi8ELi9ELi10EEEEEEENST_IJLi5ELi6ELi7ELi8ELi9ELi10EEEElEEEEES34_NS_31BlockToCTileMap_M00_N00_M01_N01ILi128ELi128ES1V_Lb0EEENS1_30ComputePtrOffsetOfStridedBatchILi1ELi1ELi1EvEELb1ELb0EEEvPKT0_S3C_T1_PT2_T3_T4_T5_iT6_T7_T8_T9_T10_T11_
    .private_segment_fixed_size: 640
    .sgpr_count:     86
    .sgpr_spill_count: 0
    .symbol:         _ZN2ck16tensor_operation6device12_GLOBAL__N_137kernel_grouped_conv_fwd_dl_multiple_dINS_32GridwiseGemmDlMultipleD_km_kn_mnILi256EffNS_5TupleIJfEEEfNS0_12element_wise11PassThroughES8_NS7_7AddReluELNS_25InMemoryDataOperationEnumE0ENS_16TensorDescriptorINS5_IJNS_5EmbedINS5_IJiiiiEEESD_Lb0EEENS_11PassThroughIiEENS_3PadIiiiLb0EEESI_SG_SG_NSC_INS5_IJiiEEESJ_Lb0EEESK_SG_NS_23Merge_v2_magic_divisionINS5_IJiiiEEEEESN_NS_8RightPadIiiLb0EEESP_NS_7UnMergeISJ_Lb0EEESG_EEENS5_IJNS_8SequenceIJLi0EEEENST_IJLi1EEEENST_IJLi2EEEENST_IJLi3EEEENST_IJLi4EEEENST_IJLi5EEEENST_IJLi6EEEENST_IJLi7EEEENST_IJLi8EEEENST_IJLi9ELi11ELi13EEEENST_IJLi10ELi12ELi14EEEENST_IJLi15EEEENST_IJLi16EEEENST_IJLi18EEEENST_IJLi17EEEEEEENS5_IJNST_IJLi1ELi2ELi3ELi4EEEESZ_S10_S11_S12_NST_IJLi9EEEENST_IJLi10ELi11EEEENST_IJLi12ELi13EEEENST_IJLi14EEEES15_S16_S18_S17_NST_IJLi19ELi20EEEENST_IJLi21EEEEEEENST_IJLi19ELi21ELi20EEEElEENSB_INS5_IJSR_SP_SP_SR_SG_EEENS5_IJSU_SV_SW_SY_SX_EEENS5_IJNST_IJLi1ELi2EEEESX_SY_NST_IJLi5ELi6EEEES11_EEENST_IJLi5ELi7ELi6EEEElEENSB_INS5_IJSK_SP_SP_EEENS5_IJSU_SV_SW_EEENS5_IJS1M_SX_SY_EEENST_IJLi3ELi4EEEElEELi128ELi128ELi16ELi1ELi4ELi4ELi1ENST_IJLi8ELi2EEEES1W_NST_IJLi8ELi1ELi1ELi1EEEENST_IJLi2ELi1ELi128ELi1EEEENST_IJLi1ELi2ELi0ELi3EEEES1Z_NST_IJLi4ELi1ELi1ELi1EEEES1Z_NST_IJLi1ELi1ELi1ELi1EEEES1X_S1Y_S1Z_S1Z_S20_S1Z_S21_NST_IJLi0ELi1ELi2ELi3ELi4ELi5EEEELi5ELi4EEEfNS5_IJPKfEEEfS8_S8_S9_NSB_INS5_IJSE_SG_SI_SI_SG_SG_SK_SK_SG_SN_SN_SP_SP_SR_SG_SG_NSQ_INS5_IJiNS_17integral_constantIiLi128EEEEEELb0EEENSF_INS27_IiLi1EEEEEEEENS5_IJSU_SV_SW_SX_SY_SZ_S10_S11_S12_S13_S14_S15_S16_S17_S18_NST_IJLi19EEEES1G_NST_IJLi20EEEEEEENS5_IJS1A_SZ_S10_S11_S12_S1B_S1C_S1D_S1E_S15_S16_S18_S17_S1F_S1G_NST_IJLi22EEEENST_IJLi23ELi24EEEENST_IJLi25EEEEEEENST_IJLi22ELi23ELi24ELi25EEEElEENSB_INS5_IJSR_SP_SP_SR_SG_SG_S2A_S2C_EEENS5_IJSU_SV_SW_SY_SX_SZ_S11_S10_EEENS5_IJS1M_SX_SY_S1N_S11_S12_NST_IJLi9ELi10EEEENST_IJLi11EEEEEEENST_IJLi8ELi9ELi10ELi11EEEElEENS5_IJNSB_INS5_IJSK_SP_SP_NSQ_INS5_IJiNS27_IiLi2EEENS27_IiLi64EEEEEELb0EEES2X_EEENS5_IJSU_SV_SW_SX_SY_EEENS5_IJS1M_SX_SY_NST_IJLi5ELi6ELi7EEEENST_IJLi8ELi9ELi10EEEEEEENST_IJLi5ELi6ELi7ELi8ELi9ELi10EEEElEEEEES34_NS_31BlockToCTileMap_M00_N00_M01_N01ILi128ELi128ES1V_Lb0EEENS1_30ComputePtrOffsetOfStridedBatchILi1ELi1ELi1EvEELb1ELb0EEEvPKT0_S3C_T1_PT2_T3_T4_T5_iT6_T7_T8_T9_T10_T11_.kd
    .uniform_work_group_size: 1
    .uses_dynamic_stack: false
    .vgpr_count:     248
    .vgpr_spill_count: 0
    .wavefront_size: 32
    .workgroup_processor_mode: 1
  - .args:
      - .address_space:  global
        .offset:         0
        .size:           8
        .value_kind:     global_buffer
      - .address_space:  global
        .offset:         8
        .size:           8
        .value_kind:     global_buffer
      - .address_space:  global
        .offset:         16
        .size:           8
        .value_kind:     global_buffer
      - .address_space:  global
        .offset:         24
        .size:           8
        .value_kind:     global_buffer
      - .offset:         32
        .size:           1
        .value_kind:     by_value
      - .offset:         33
        .size:           1
        .value_kind:     by_value
      - .offset:         34
        .size:           1
        .value_kind:     by_value
      - .offset:         36
        .size:           4
        .value_kind:     by_value
      - .offset:         40
        .size:           264
        .value_kind:     by_value
      - .offset:         304
        .size:           96
        .value_kind:     by_value
      - .offset:         400
        .size:           80
        .value_kind:     by_value
      - .offset:         480
        .size:           80
        .value_kind:     by_value
      - .offset:         560
        .size:           112
        .value_kind:     by_value
      - .offset:         672
        .size:           40
        .value_kind:     by_value
      - .offset:         712
        .size:           4
        .value_kind:     hidden_block_count_x
      - .offset:         716
        .size:           4
        .value_kind:     hidden_block_count_y
      - .offset:         720
        .size:           4
        .value_kind:     hidden_block_count_z
      - .offset:         724
        .size:           2
        .value_kind:     hidden_group_size_x
      - .offset:         726
        .size:           2
        .value_kind:     hidden_group_size_y
      - .offset:         728
        .size:           2
        .value_kind:     hidden_group_size_z
      - .offset:         730
        .size:           2
        .value_kind:     hidden_remainder_x
      - .offset:         732
        .size:           2
        .value_kind:     hidden_remainder_y
      - .offset:         734
        .size:           2
        .value_kind:     hidden_remainder_z
      - .offset:         752
        .size:           8
        .value_kind:     hidden_global_offset_x
      - .offset:         760
        .size:           8
        .value_kind:     hidden_global_offset_y
      - .offset:         768
        .size:           8
        .value_kind:     hidden_global_offset_z
      - .offset:         776
        .size:           2
        .value_kind:     hidden_grid_dims
    .group_segment_fixed_size: 32768
    .kernarg_segment_align: 8
    .kernarg_segment_size: 968
    .language:       OpenCL C
    .language_version:
      - 2
      - 0
    .max_flat_workgroup_size: 256
    .name:           _ZN2ck16tensor_operation6device12_GLOBAL__N_137kernel_grouped_conv_fwd_dl_multiple_dINS_32GridwiseGemmDlMultipleD_km_kn_mnILi256EffNS_5TupleIJfEEEfNS0_12element_wise11PassThroughES8_NS7_7AddReluELNS_25InMemoryDataOperationEnumE0ENS_16TensorDescriptorINS5_IJNS_5EmbedINS5_IJiiiiEEESD_Lb0EEENS_11PassThroughIiEENS_3PadIiiiLb0EEESI_SG_SG_NSC_INS5_IJiiEEESJ_Lb0EEESK_SG_NS_23Merge_v2_magic_divisionINS5_IJiiiEEEEESN_NS_8RightPadIiiLb0EEESP_NS_7UnMergeISJ_Lb0EEESG_EEENS5_IJNS_8SequenceIJLi0EEEENST_IJLi1EEEENST_IJLi2EEEENST_IJLi3EEEENST_IJLi4EEEENST_IJLi5EEEENST_IJLi6EEEENST_IJLi7EEEENST_IJLi8EEEENST_IJLi9ELi11ELi13EEEENST_IJLi10ELi12ELi14EEEENST_IJLi15EEEENST_IJLi16EEEENST_IJLi18EEEENST_IJLi17EEEEEEENS5_IJNST_IJLi1ELi2ELi3ELi4EEEESZ_S10_S11_S12_NST_IJLi9EEEENST_IJLi10ELi11EEEENST_IJLi12ELi13EEEENST_IJLi14EEEES15_S16_S18_S17_NST_IJLi19ELi20EEEENST_IJLi21EEEEEEENST_IJLi19ELi21ELi20EEEElEENSB_INS5_IJSR_SP_SP_SR_SG_EEENS5_IJSU_SV_SW_SY_SX_EEENS5_IJNST_IJLi1ELi2EEEESX_SY_NST_IJLi5ELi6EEEES11_EEENST_IJLi5ELi7ELi6EEEElEENSB_INS5_IJSK_SP_SP_EEENS5_IJSU_SV_SW_EEENS5_IJS1M_SX_SY_EEENST_IJLi3ELi4EEEElEELi128ELi128ELi16ELi1ELi4ELi4ELi1ENST_IJLi8ELi2EEEES1W_NST_IJLi8ELi1ELi1ELi1EEEENST_IJLi2ELi1ELi128ELi1EEEENST_IJLi1ELi2ELi0ELi3EEEES1Z_NST_IJLi4ELi1ELi1ELi1EEEES1Z_NST_IJLi1ELi1ELi1ELi1EEEES1X_S1Y_S1Z_S1Z_S20_S1Z_S21_NST_IJLi0ELi1ELi2ELi3ELi4ELi5EEEELi5ELi4EEEfNS5_IJPKfEEEfS8_S8_S9_NSB_INS5_IJSE_SG_SI_SI_SG_SG_SK_SK_SG_SN_SN_SP_SP_SR_SG_SG_NSQ_INS5_IJiNS_17integral_constantIiLi128EEEEEELb0EEENSF_INS27_IiLi1EEEEEEEENS5_IJSU_SV_SW_SX_SY_SZ_S10_S11_S12_S13_S14_S15_S16_S17_S18_NST_IJLi19EEEES1G_NST_IJLi20EEEEEEENS5_IJS1A_SZ_S10_S11_S12_S1B_S1C_S1D_S1E_S15_S16_S18_S17_S1F_S1G_NST_IJLi22EEEENST_IJLi23ELi24EEEENST_IJLi25EEEEEEENST_IJLi22ELi23ELi24ELi25EEEElEENSB_INS5_IJSR_SP_SP_SR_SG_SG_S2A_S2C_EEENS5_IJSU_SV_SW_SY_SX_SZ_S11_S10_EEENS5_IJS1M_SX_SY_S1N_S11_S12_NST_IJLi9ELi10EEEENST_IJLi11EEEEEEENST_IJLi8ELi9ELi10ELi11EEEElEENS5_IJNSB_INS5_IJSK_SP_SP_NSQ_INS5_IJiNS27_IiLi2EEENS27_IiLi64EEEEEELb0EEES2X_EEENS5_IJSU_SV_SW_SX_SY_EEENS5_IJS1M_SX_SY_NST_IJLi5ELi6ELi7EEEENST_IJLi8ELi9ELi10EEEEEEENST_IJLi5ELi6ELi7ELi8ELi9ELi10EEEElEEEEES34_NS_31BlockToCTileMap_M00_N00_M01_N01ILi128ELi128ES1V_Lb0EEENS1_30ComputePtrOffsetOfStridedBatchILi1ELi1ELi1EvEELb0ELb1EEEvPKT0_S3C_T1_PT2_T3_T4_T5_iT6_T7_T8_T9_T10_T11_
    .private_segment_fixed_size: 0
    .sgpr_count:     60
    .sgpr_spill_count: 0
    .symbol:         _ZN2ck16tensor_operation6device12_GLOBAL__N_137kernel_grouped_conv_fwd_dl_multiple_dINS_32GridwiseGemmDlMultipleD_km_kn_mnILi256EffNS_5TupleIJfEEEfNS0_12element_wise11PassThroughES8_NS7_7AddReluELNS_25InMemoryDataOperationEnumE0ENS_16TensorDescriptorINS5_IJNS_5EmbedINS5_IJiiiiEEESD_Lb0EEENS_11PassThroughIiEENS_3PadIiiiLb0EEESI_SG_SG_NSC_INS5_IJiiEEESJ_Lb0EEESK_SG_NS_23Merge_v2_magic_divisionINS5_IJiiiEEEEESN_NS_8RightPadIiiLb0EEESP_NS_7UnMergeISJ_Lb0EEESG_EEENS5_IJNS_8SequenceIJLi0EEEENST_IJLi1EEEENST_IJLi2EEEENST_IJLi3EEEENST_IJLi4EEEENST_IJLi5EEEENST_IJLi6EEEENST_IJLi7EEEENST_IJLi8EEEENST_IJLi9ELi11ELi13EEEENST_IJLi10ELi12ELi14EEEENST_IJLi15EEEENST_IJLi16EEEENST_IJLi18EEEENST_IJLi17EEEEEEENS5_IJNST_IJLi1ELi2ELi3ELi4EEEESZ_S10_S11_S12_NST_IJLi9EEEENST_IJLi10ELi11EEEENST_IJLi12ELi13EEEENST_IJLi14EEEES15_S16_S18_S17_NST_IJLi19ELi20EEEENST_IJLi21EEEEEEENST_IJLi19ELi21ELi20EEEElEENSB_INS5_IJSR_SP_SP_SR_SG_EEENS5_IJSU_SV_SW_SY_SX_EEENS5_IJNST_IJLi1ELi2EEEESX_SY_NST_IJLi5ELi6EEEES11_EEENST_IJLi5ELi7ELi6EEEElEENSB_INS5_IJSK_SP_SP_EEENS5_IJSU_SV_SW_EEENS5_IJS1M_SX_SY_EEENST_IJLi3ELi4EEEElEELi128ELi128ELi16ELi1ELi4ELi4ELi1ENST_IJLi8ELi2EEEES1W_NST_IJLi8ELi1ELi1ELi1EEEENST_IJLi2ELi1ELi128ELi1EEEENST_IJLi1ELi2ELi0ELi3EEEES1Z_NST_IJLi4ELi1ELi1ELi1EEEES1Z_NST_IJLi1ELi1ELi1ELi1EEEES1X_S1Y_S1Z_S1Z_S20_S1Z_S21_NST_IJLi0ELi1ELi2ELi3ELi4ELi5EEEELi5ELi4EEEfNS5_IJPKfEEEfS8_S8_S9_NSB_INS5_IJSE_SG_SI_SI_SG_SG_SK_SK_SG_SN_SN_SP_SP_SR_SG_SG_NSQ_INS5_IJiNS_17integral_constantIiLi128EEEEEELb0EEENSF_INS27_IiLi1EEEEEEEENS5_IJSU_SV_SW_SX_SY_SZ_S10_S11_S12_S13_S14_S15_S16_S17_S18_NST_IJLi19EEEES1G_NST_IJLi20EEEEEEENS5_IJS1A_SZ_S10_S11_S12_S1B_S1C_S1D_S1E_S15_S16_S18_S17_S1F_S1G_NST_IJLi22EEEENST_IJLi23ELi24EEEENST_IJLi25EEEEEEENST_IJLi22ELi23ELi24ELi25EEEElEENSB_INS5_IJSR_SP_SP_SR_SG_SG_S2A_S2C_EEENS5_IJSU_SV_SW_SY_SX_SZ_S11_S10_EEENS5_IJS1M_SX_SY_S1N_S11_S12_NST_IJLi9ELi10EEEENST_IJLi11EEEEEEENST_IJLi8ELi9ELi10ELi11EEEElEENS5_IJNSB_INS5_IJSK_SP_SP_NSQ_INS5_IJiNS27_IiLi2EEENS27_IiLi64EEEEEELb0EEES2X_EEENS5_IJSU_SV_SW_SX_SY_EEENS5_IJS1M_SX_SY_NST_IJLi5ELi6ELi7EEEENST_IJLi8ELi9ELi10EEEEEEENST_IJLi5ELi6ELi7ELi8ELi9ELi10EEEElEEEEES34_NS_31BlockToCTileMap_M00_N00_M01_N01ILi128ELi128ES1V_Lb0EEENS1_30ComputePtrOffsetOfStridedBatchILi1ELi1ELi1EvEELb0ELb1EEEvPKT0_S3C_T1_PT2_T3_T4_T5_iT6_T7_T8_T9_T10_T11_.kd
    .uniform_work_group_size: 1
    .uses_dynamic_stack: false
    .vgpr_count:     132
    .vgpr_spill_count: 0
    .wavefront_size: 32
    .workgroup_processor_mode: 1
  - .args:
      - .address_space:  global
        .offset:         0
        .size:           8
        .value_kind:     global_buffer
      - .address_space:  global
        .offset:         8
        .size:           8
        .value_kind:     global_buffer
      - .address_space:  global
        .offset:         16
        .size:           8
        .value_kind:     global_buffer
      - .address_space:  global
        .offset:         24
        .size:           8
        .value_kind:     global_buffer
      - .offset:         32
        .size:           1
        .value_kind:     by_value
      - .offset:         33
        .size:           1
        .value_kind:     by_value
      - .offset:         34
        .size:           1
        .value_kind:     by_value
      - .offset:         36
        .size:           4
        .value_kind:     by_value
      - .offset:         40
        .size:           264
        .value_kind:     by_value
      - .offset:         304
        .size:           96
        .value_kind:     by_value
      - .offset:         400
        .size:           80
        .value_kind:     by_value
      - .offset:         480
        .size:           80
        .value_kind:     by_value
      - .offset:         560
        .size:           112
        .value_kind:     by_value
      - .offset:         672
        .size:           40
        .value_kind:     by_value
      - .offset:         712
        .size:           4
        .value_kind:     hidden_block_count_x
      - .offset:         716
        .size:           4
        .value_kind:     hidden_block_count_y
      - .offset:         720
        .size:           4
        .value_kind:     hidden_block_count_z
      - .offset:         724
        .size:           2
        .value_kind:     hidden_group_size_x
      - .offset:         726
        .size:           2
        .value_kind:     hidden_group_size_y
      - .offset:         728
        .size:           2
        .value_kind:     hidden_group_size_z
      - .offset:         730
        .size:           2
        .value_kind:     hidden_remainder_x
      - .offset:         732
        .size:           2
        .value_kind:     hidden_remainder_y
      - .offset:         734
        .size:           2
        .value_kind:     hidden_remainder_z
      - .offset:         752
        .size:           8
        .value_kind:     hidden_global_offset_x
      - .offset:         760
        .size:           8
        .value_kind:     hidden_global_offset_y
      - .offset:         768
        .size:           8
        .value_kind:     hidden_global_offset_z
      - .offset:         776
        .size:           2
        .value_kind:     hidden_grid_dims
    .group_segment_fixed_size: 32768
    .kernarg_segment_align: 8
    .kernarg_segment_size: 968
    .language:       OpenCL C
    .language_version:
      - 2
      - 0
    .max_flat_workgroup_size: 256
    .name:           _ZN2ck16tensor_operation6device12_GLOBAL__N_137kernel_grouped_conv_fwd_dl_multiple_dINS_32GridwiseGemmDlMultipleD_km_kn_mnILi256EffNS_5TupleIJfEEEfNS0_12element_wise11PassThroughES8_NS7_7AddReluELNS_25InMemoryDataOperationEnumE0ENS_16TensorDescriptorINS5_IJNS_5EmbedINS5_IJiiiiEEESD_Lb0EEENS_11PassThroughIiEENS_3PadIiiiLb0EEESI_SG_SG_NSC_INS5_IJiiEEESJ_Lb0EEESK_SG_NS_23Merge_v2_magic_divisionINS5_IJiiiEEEEESN_NS_8RightPadIiiLb0EEESP_NS_7UnMergeISJ_Lb0EEESG_EEENS5_IJNS_8SequenceIJLi0EEEENST_IJLi1EEEENST_IJLi2EEEENST_IJLi3EEEENST_IJLi4EEEENST_IJLi5EEEENST_IJLi6EEEENST_IJLi7EEEENST_IJLi8EEEENST_IJLi9ELi11ELi13EEEENST_IJLi10ELi12ELi14EEEENST_IJLi15EEEENST_IJLi16EEEENST_IJLi18EEEENST_IJLi17EEEEEEENS5_IJNST_IJLi1ELi2ELi3ELi4EEEESZ_S10_S11_S12_NST_IJLi9EEEENST_IJLi10ELi11EEEENST_IJLi12ELi13EEEENST_IJLi14EEEES15_S16_S18_S17_NST_IJLi19ELi20EEEENST_IJLi21EEEEEEENST_IJLi19ELi21ELi20EEEElEENSB_INS5_IJSR_SP_SP_SR_SG_EEENS5_IJSU_SV_SW_SY_SX_EEENS5_IJNST_IJLi1ELi2EEEESX_SY_NST_IJLi5ELi6EEEES11_EEENST_IJLi5ELi7ELi6EEEElEENSB_INS5_IJSK_SP_SP_EEENS5_IJSU_SV_SW_EEENS5_IJS1M_SX_SY_EEENST_IJLi3ELi4EEEElEELi128ELi128ELi16ELi1ELi4ELi4ELi1ENST_IJLi8ELi2EEEES1W_NST_IJLi8ELi1ELi1ELi1EEEENST_IJLi2ELi1ELi128ELi1EEEENST_IJLi1ELi2ELi0ELi3EEEES1Z_NST_IJLi4ELi1ELi1ELi1EEEES1Z_NST_IJLi1ELi1ELi1ELi1EEEES1X_S1Y_S1Z_S1Z_S20_S1Z_S21_NST_IJLi0ELi1ELi2ELi3ELi4ELi5EEEELi5ELi4EEEfNS5_IJPKfEEEfS8_S8_S9_NSB_INS5_IJSE_SG_SI_SI_SG_SG_SK_SK_SG_SN_SN_SP_SP_SR_SG_SG_NSQ_INS5_IJiNS_17integral_constantIiLi128EEEEEELb0EEENSF_INS27_IiLi1EEEEEEEENS5_IJSU_SV_SW_SX_SY_SZ_S10_S11_S12_S13_S14_S15_S16_S17_S18_NST_IJLi19EEEES1G_NST_IJLi20EEEEEEENS5_IJS1A_SZ_S10_S11_S12_S1B_S1C_S1D_S1E_S15_S16_S18_S17_S1F_S1G_NST_IJLi22EEEENST_IJLi23ELi24EEEENST_IJLi25EEEEEEENST_IJLi22ELi23ELi24ELi25EEEElEENSB_INS5_IJSR_SP_SP_SR_SG_SG_S2A_S2C_EEENS5_IJSU_SV_SW_SY_SX_SZ_S11_S10_EEENS5_IJS1M_SX_SY_S1N_S11_S12_NST_IJLi9ELi10EEEENST_IJLi11EEEEEEENST_IJLi8ELi9ELi10ELi11EEEElEENS5_IJNSB_INS5_IJSK_SP_SP_NSQ_INS5_IJiNS27_IiLi2EEENS27_IiLi64EEEEEELb0EEES2X_EEENS5_IJSU_SV_SW_SX_SY_EEENS5_IJS1M_SX_SY_NST_IJLi5ELi6ELi7EEEENST_IJLi8ELi9ELi10EEEEEEENST_IJLi5ELi6ELi7ELi8ELi9ELi10EEEElEEEEES34_NS_31BlockToCTileMap_M00_N00_M01_N01ILi128ELi128ES1V_Lb0EEENS1_30ComputePtrOffsetOfStridedBatchILi1ELi1ELi1EvEELb0ELb0EEEvPKT0_S3C_T1_PT2_T3_T4_T5_iT6_T7_T8_T9_T10_T11_
    .private_segment_fixed_size: 0
    .sgpr_count:     60
    .sgpr_spill_count: 0
    .symbol:         _ZN2ck16tensor_operation6device12_GLOBAL__N_137kernel_grouped_conv_fwd_dl_multiple_dINS_32GridwiseGemmDlMultipleD_km_kn_mnILi256EffNS_5TupleIJfEEEfNS0_12element_wise11PassThroughES8_NS7_7AddReluELNS_25InMemoryDataOperationEnumE0ENS_16TensorDescriptorINS5_IJNS_5EmbedINS5_IJiiiiEEESD_Lb0EEENS_11PassThroughIiEENS_3PadIiiiLb0EEESI_SG_SG_NSC_INS5_IJiiEEESJ_Lb0EEESK_SG_NS_23Merge_v2_magic_divisionINS5_IJiiiEEEEESN_NS_8RightPadIiiLb0EEESP_NS_7UnMergeISJ_Lb0EEESG_EEENS5_IJNS_8SequenceIJLi0EEEENST_IJLi1EEEENST_IJLi2EEEENST_IJLi3EEEENST_IJLi4EEEENST_IJLi5EEEENST_IJLi6EEEENST_IJLi7EEEENST_IJLi8EEEENST_IJLi9ELi11ELi13EEEENST_IJLi10ELi12ELi14EEEENST_IJLi15EEEENST_IJLi16EEEENST_IJLi18EEEENST_IJLi17EEEEEEENS5_IJNST_IJLi1ELi2ELi3ELi4EEEESZ_S10_S11_S12_NST_IJLi9EEEENST_IJLi10ELi11EEEENST_IJLi12ELi13EEEENST_IJLi14EEEES15_S16_S18_S17_NST_IJLi19ELi20EEEENST_IJLi21EEEEEEENST_IJLi19ELi21ELi20EEEElEENSB_INS5_IJSR_SP_SP_SR_SG_EEENS5_IJSU_SV_SW_SY_SX_EEENS5_IJNST_IJLi1ELi2EEEESX_SY_NST_IJLi5ELi6EEEES11_EEENST_IJLi5ELi7ELi6EEEElEENSB_INS5_IJSK_SP_SP_EEENS5_IJSU_SV_SW_EEENS5_IJS1M_SX_SY_EEENST_IJLi3ELi4EEEElEELi128ELi128ELi16ELi1ELi4ELi4ELi1ENST_IJLi8ELi2EEEES1W_NST_IJLi8ELi1ELi1ELi1EEEENST_IJLi2ELi1ELi128ELi1EEEENST_IJLi1ELi2ELi0ELi3EEEES1Z_NST_IJLi4ELi1ELi1ELi1EEEES1Z_NST_IJLi1ELi1ELi1ELi1EEEES1X_S1Y_S1Z_S1Z_S20_S1Z_S21_NST_IJLi0ELi1ELi2ELi3ELi4ELi5EEEELi5ELi4EEEfNS5_IJPKfEEEfS8_S8_S9_NSB_INS5_IJSE_SG_SI_SI_SG_SG_SK_SK_SG_SN_SN_SP_SP_SR_SG_SG_NSQ_INS5_IJiNS_17integral_constantIiLi128EEEEEELb0EEENSF_INS27_IiLi1EEEEEEEENS5_IJSU_SV_SW_SX_SY_SZ_S10_S11_S12_S13_S14_S15_S16_S17_S18_NST_IJLi19EEEES1G_NST_IJLi20EEEEEEENS5_IJS1A_SZ_S10_S11_S12_S1B_S1C_S1D_S1E_S15_S16_S18_S17_S1F_S1G_NST_IJLi22EEEENST_IJLi23ELi24EEEENST_IJLi25EEEEEEENST_IJLi22ELi23ELi24ELi25EEEElEENSB_INS5_IJSR_SP_SP_SR_SG_SG_S2A_S2C_EEENS5_IJSU_SV_SW_SY_SX_SZ_S11_S10_EEENS5_IJS1M_SX_SY_S1N_S11_S12_NST_IJLi9ELi10EEEENST_IJLi11EEEEEEENST_IJLi8ELi9ELi10ELi11EEEElEENS5_IJNSB_INS5_IJSK_SP_SP_NSQ_INS5_IJiNS27_IiLi2EEENS27_IiLi64EEEEEELb0EEES2X_EEENS5_IJSU_SV_SW_SX_SY_EEENS5_IJS1M_SX_SY_NST_IJLi5ELi6ELi7EEEENST_IJLi8ELi9ELi10EEEEEEENST_IJLi5ELi6ELi7ELi8ELi9ELi10EEEElEEEEES34_NS_31BlockToCTileMap_M00_N00_M01_N01ILi128ELi128ES1V_Lb0EEENS1_30ComputePtrOffsetOfStridedBatchILi1ELi1ELi1EvEELb0ELb0EEEvPKT0_S3C_T1_PT2_T3_T4_T5_iT6_T7_T8_T9_T10_T11_.kd
    .uniform_work_group_size: 1
    .uses_dynamic_stack: false
    .vgpr_count:     132
    .vgpr_spill_count: 0
    .wavefront_size: 32
    .workgroup_processor_mode: 1
  - .args:
      - .address_space:  global
        .offset:         0
        .size:           8
        .value_kind:     global_buffer
      - .address_space:  global
        .offset:         8
        .size:           8
        .value_kind:     global_buffer
      - .address_space:  global
        .offset:         16
        .size:           8
        .value_kind:     global_buffer
      - .address_space:  global
        .offset:         24
        .size:           8
        .value_kind:     global_buffer
      - .offset:         32
        .size:           1
        .value_kind:     by_value
      - .offset:         33
        .size:           1
        .value_kind:     by_value
      - .offset:         34
        .size:           1
        .value_kind:     by_value
      - .offset:         36
        .size:           4
        .value_kind:     by_value
      - .offset:         40
        .size:           320
        .value_kind:     by_value
      - .offset:         360
        .size:           96
        .value_kind:     by_value
      - .offset:         456
        .size:           80
        .value_kind:     by_value
      - .offset:         536
        .size:           80
        .value_kind:     by_value
      - .offset:         616
        .size:           112
        .value_kind:     by_value
      - .offset:         728
        .size:           40
        .value_kind:     by_value
      - .offset:         768
        .size:           4
        .value_kind:     hidden_block_count_x
      - .offset:         772
        .size:           4
        .value_kind:     hidden_block_count_y
      - .offset:         776
        .size:           4
        .value_kind:     hidden_block_count_z
      - .offset:         780
        .size:           2
        .value_kind:     hidden_group_size_x
      - .offset:         782
        .size:           2
        .value_kind:     hidden_group_size_y
      - .offset:         784
        .size:           2
        .value_kind:     hidden_group_size_z
      - .offset:         786
        .size:           2
        .value_kind:     hidden_remainder_x
      - .offset:         788
        .size:           2
        .value_kind:     hidden_remainder_y
      - .offset:         790
        .size:           2
        .value_kind:     hidden_remainder_z
      - .offset:         808
        .size:           8
        .value_kind:     hidden_global_offset_x
      - .offset:         816
        .size:           8
        .value_kind:     hidden_global_offset_y
      - .offset:         824
        .size:           8
        .value_kind:     hidden_global_offset_z
      - .offset:         832
        .size:           2
        .value_kind:     hidden_grid_dims
    .group_segment_fixed_size: 32768
    .kernarg_segment_align: 8
    .kernarg_segment_size: 1024
    .language:       OpenCL C
    .language_version:
      - 2
      - 0
    .max_flat_workgroup_size: 256
    .name:           _ZN2ck16tensor_operation6device12_GLOBAL__N_137kernel_grouped_conv_fwd_dl_multiple_dINS_32GridwiseGemmDlMultipleD_km_kn_mnILi256EffNS_5TupleIJfEEEfNS0_12element_wise11PassThroughES8_NS7_7AddReluELNS_25InMemoryDataOperationEnumE0ENS_16TensorDescriptorINS5_IJNS_5EmbedINS5_IJiiiiiEEESD_Lb0EEENS_11PassThroughIiEENS_3PadIiiiLb0EEESI_SI_SG_SG_NSC_INS5_IJiiEEESJ_Lb0EEESK_SK_SG_NS_23Merge_v2_magic_divisionINS5_IJiiiiEEEEESN_NS_8RightPadIiiLb0EEESP_NS_7UnMergeISJ_Lb0EEESG_EEENS5_IJNS_8SequenceIJLi0EEEENST_IJLi1EEEENST_IJLi2EEEENST_IJLi3EEEENST_IJLi4EEEENST_IJLi5EEEENST_IJLi6EEEENST_IJLi7EEEENST_IJLi8EEEENST_IJLi9EEEENST_IJLi10EEEENST_IJLi11ELi13ELi15ELi17EEEENST_IJLi12ELi14ELi16ELi18EEEENST_IJLi19EEEENST_IJLi20EEEENST_IJLi22EEEENST_IJLi21EEEEEEENS5_IJNST_IJLi1ELi2ELi3ELi4ELi5EEEES10_S11_S12_S13_S14_NST_IJLi11EEEENST_IJLi12ELi13EEEENST_IJLi14ELi15EEEENST_IJLi16ELi17EEEENST_IJLi18EEEES17_S18_S1A_S19_NST_IJLi23ELi24EEEENST_IJLi25EEEEEEENST_IJLi23ELi25ELi24EEEElEENSB_INS5_IJSR_SP_SP_SR_SG_EEENS5_IJSU_SV_SW_SY_SX_EEENS5_IJNST_IJLi1ELi2EEEESX_SY_NST_IJLi5ELi6EEEES11_EEENST_IJLi5ELi7ELi6EEEElEENSB_INS5_IJSK_SP_SP_EEENS5_IJSU_SV_SW_EEENS5_IJS1P_SX_SY_EEENST_IJLi3ELi4EEEElEELi128ELi128ELi16ELi1ELi4ELi4ELi1ENST_IJLi8ELi2EEEES1Z_NST_IJLi8ELi1ELi1ELi1EEEENST_IJLi2ELi1ELi128ELi1EEEENST_IJLi1ELi2ELi0ELi3EEEES22_NST_IJLi4ELi1ELi1ELi1EEEES22_NST_IJLi1ELi1ELi1ELi1EEEES20_S21_S22_S22_S23_S22_S24_NST_IJLi0ELi1ELi2ELi3ELi4ELi5EEEELi5ELi4EEEfNS5_IJPKfEEEfS8_S8_S9_NSB_INS5_IJSE_SG_SI_SI_SI_SG_SG_SK_SK_SK_SG_SN_SN_SP_SP_SR_SG_SG_NSQ_INS5_IJiNS_17integral_constantIiLi128EEEEEELb0EEENSF_INS2A_IiLi1EEEEEEEENS5_IJSU_SV_SW_SX_SY_SZ_S10_S11_S12_S13_S14_S15_S16_S17_S18_S19_S1A_NST_IJLi23EEEES1J_NST_IJLi24EEEEEEENS5_IJS1C_S10_S11_S12_S13_S14_S1D_S1E_S1F_S1G_S1H_S17_S18_S1A_S19_S1I_S1J_NST_IJLi26EEEENST_IJLi27ELi28EEEENST_IJLi29EEEEEEENST_IJLi26ELi27ELi28ELi29EEEElEENSB_INS5_IJSR_SP_SP_SR_SG_SG_S2D_S2F_EEENS5_IJSU_SV_SW_SY_SX_SZ_S11_S10_EEENS5_IJS1P_SX_SY_S1Q_S11_S12_NST_IJLi9ELi10EEEES1D_EEENST_IJLi8ELi9ELi10ELi11EEEElEENS5_IJNSB_INS5_IJSK_SP_SP_NSQ_INS5_IJiNS2A_IiLi2EEENS2A_IiLi64EEEEEELb0EEES2Z_EEENS5_IJSU_SV_SW_SX_SY_EEENS5_IJS1P_SX_SY_NST_IJLi5ELi6ELi7EEEENST_IJLi8ELi9ELi10EEEEEEENST_IJLi5ELi6ELi7ELi8ELi9ELi10EEEElEEEEES36_NS_31BlockToCTileMap_M00_N00_M01_N01ILi128ELi128ES1Y_Lb0EEENS1_30ComputePtrOffsetOfStridedBatchILi1ELi1ELi1EvEELb1ELb1EEEvPKT0_S3E_T1_PT2_T3_T4_T5_iT6_T7_T8_T9_T10_T11_
    .private_segment_fixed_size: 704
    .sgpr_count:     102
    .sgpr_spill_count: 0
    .symbol:         _ZN2ck16tensor_operation6device12_GLOBAL__N_137kernel_grouped_conv_fwd_dl_multiple_dINS_32GridwiseGemmDlMultipleD_km_kn_mnILi256EffNS_5TupleIJfEEEfNS0_12element_wise11PassThroughES8_NS7_7AddReluELNS_25InMemoryDataOperationEnumE0ENS_16TensorDescriptorINS5_IJNS_5EmbedINS5_IJiiiiiEEESD_Lb0EEENS_11PassThroughIiEENS_3PadIiiiLb0EEESI_SI_SG_SG_NSC_INS5_IJiiEEESJ_Lb0EEESK_SK_SG_NS_23Merge_v2_magic_divisionINS5_IJiiiiEEEEESN_NS_8RightPadIiiLb0EEESP_NS_7UnMergeISJ_Lb0EEESG_EEENS5_IJNS_8SequenceIJLi0EEEENST_IJLi1EEEENST_IJLi2EEEENST_IJLi3EEEENST_IJLi4EEEENST_IJLi5EEEENST_IJLi6EEEENST_IJLi7EEEENST_IJLi8EEEENST_IJLi9EEEENST_IJLi10EEEENST_IJLi11ELi13ELi15ELi17EEEENST_IJLi12ELi14ELi16ELi18EEEENST_IJLi19EEEENST_IJLi20EEEENST_IJLi22EEEENST_IJLi21EEEEEEENS5_IJNST_IJLi1ELi2ELi3ELi4ELi5EEEES10_S11_S12_S13_S14_NST_IJLi11EEEENST_IJLi12ELi13EEEENST_IJLi14ELi15EEEENST_IJLi16ELi17EEEENST_IJLi18EEEES17_S18_S1A_S19_NST_IJLi23ELi24EEEENST_IJLi25EEEEEEENST_IJLi23ELi25ELi24EEEElEENSB_INS5_IJSR_SP_SP_SR_SG_EEENS5_IJSU_SV_SW_SY_SX_EEENS5_IJNST_IJLi1ELi2EEEESX_SY_NST_IJLi5ELi6EEEES11_EEENST_IJLi5ELi7ELi6EEEElEENSB_INS5_IJSK_SP_SP_EEENS5_IJSU_SV_SW_EEENS5_IJS1P_SX_SY_EEENST_IJLi3ELi4EEEElEELi128ELi128ELi16ELi1ELi4ELi4ELi1ENST_IJLi8ELi2EEEES1Z_NST_IJLi8ELi1ELi1ELi1EEEENST_IJLi2ELi1ELi128ELi1EEEENST_IJLi1ELi2ELi0ELi3EEEES22_NST_IJLi4ELi1ELi1ELi1EEEES22_NST_IJLi1ELi1ELi1ELi1EEEES20_S21_S22_S22_S23_S22_S24_NST_IJLi0ELi1ELi2ELi3ELi4ELi5EEEELi5ELi4EEEfNS5_IJPKfEEEfS8_S8_S9_NSB_INS5_IJSE_SG_SI_SI_SI_SG_SG_SK_SK_SK_SG_SN_SN_SP_SP_SR_SG_SG_NSQ_INS5_IJiNS_17integral_constantIiLi128EEEEEELb0EEENSF_INS2A_IiLi1EEEEEEEENS5_IJSU_SV_SW_SX_SY_SZ_S10_S11_S12_S13_S14_S15_S16_S17_S18_S19_S1A_NST_IJLi23EEEES1J_NST_IJLi24EEEEEEENS5_IJS1C_S10_S11_S12_S13_S14_S1D_S1E_S1F_S1G_S1H_S17_S18_S1A_S19_S1I_S1J_NST_IJLi26EEEENST_IJLi27ELi28EEEENST_IJLi29EEEEEEENST_IJLi26ELi27ELi28ELi29EEEElEENSB_INS5_IJSR_SP_SP_SR_SG_SG_S2D_S2F_EEENS5_IJSU_SV_SW_SY_SX_SZ_S11_S10_EEENS5_IJS1P_SX_SY_S1Q_S11_S12_NST_IJLi9ELi10EEEES1D_EEENST_IJLi8ELi9ELi10ELi11EEEElEENS5_IJNSB_INS5_IJSK_SP_SP_NSQ_INS5_IJiNS2A_IiLi2EEENS2A_IiLi64EEEEEELb0EEES2Z_EEENS5_IJSU_SV_SW_SX_SY_EEENS5_IJS1P_SX_SY_NST_IJLi5ELi6ELi7EEEENST_IJLi8ELi9ELi10EEEEEEENST_IJLi5ELi6ELi7ELi8ELi9ELi10EEEElEEEEES36_NS_31BlockToCTileMap_M00_N00_M01_N01ILi128ELi128ES1Y_Lb0EEENS1_30ComputePtrOffsetOfStridedBatchILi1ELi1ELi1EvEELb1ELb1EEEvPKT0_S3E_T1_PT2_T3_T4_T5_iT6_T7_T8_T9_T10_T11_.kd
    .uniform_work_group_size: 1
    .uses_dynamic_stack: false
    .vgpr_count:     246
    .vgpr_spill_count: 0
    .wavefront_size: 32
    .workgroup_processor_mode: 1
  - .args:
      - .address_space:  global
        .offset:         0
        .size:           8
        .value_kind:     global_buffer
      - .address_space:  global
        .offset:         8
        .size:           8
        .value_kind:     global_buffer
      - .address_space:  global
        .offset:         16
        .size:           8
        .value_kind:     global_buffer
      - .address_space:  global
        .offset:         24
        .size:           8
        .value_kind:     global_buffer
      - .offset:         32
        .size:           1
        .value_kind:     by_value
      - .offset:         33
        .size:           1
        .value_kind:     by_value
      - .offset:         34
        .size:           1
        .value_kind:     by_value
      - .offset:         36
        .size:           4
        .value_kind:     by_value
      - .offset:         40
        .size:           320
        .value_kind:     by_value
      - .offset:         360
        .size:           96
        .value_kind:     by_value
      - .offset:         456
        .size:           80
        .value_kind:     by_value
      - .offset:         536
        .size:           80
        .value_kind:     by_value
      - .offset:         616
        .size:           112
        .value_kind:     by_value
      - .offset:         728
        .size:           40
        .value_kind:     by_value
      - .offset:         768
        .size:           4
        .value_kind:     hidden_block_count_x
      - .offset:         772
        .size:           4
        .value_kind:     hidden_block_count_y
      - .offset:         776
        .size:           4
        .value_kind:     hidden_block_count_z
      - .offset:         780
        .size:           2
        .value_kind:     hidden_group_size_x
      - .offset:         782
        .size:           2
        .value_kind:     hidden_group_size_y
      - .offset:         784
        .size:           2
        .value_kind:     hidden_group_size_z
      - .offset:         786
        .size:           2
        .value_kind:     hidden_remainder_x
      - .offset:         788
        .size:           2
        .value_kind:     hidden_remainder_y
      - .offset:         790
        .size:           2
        .value_kind:     hidden_remainder_z
      - .offset:         808
        .size:           8
        .value_kind:     hidden_global_offset_x
      - .offset:         816
        .size:           8
        .value_kind:     hidden_global_offset_y
      - .offset:         824
        .size:           8
        .value_kind:     hidden_global_offset_z
      - .offset:         832
        .size:           2
        .value_kind:     hidden_grid_dims
    .group_segment_fixed_size: 32768
    .kernarg_segment_align: 8
    .kernarg_segment_size: 1024
    .language:       OpenCL C
    .language_version:
      - 2
      - 0
    .max_flat_workgroup_size: 256
    .name:           _ZN2ck16tensor_operation6device12_GLOBAL__N_137kernel_grouped_conv_fwd_dl_multiple_dINS_32GridwiseGemmDlMultipleD_km_kn_mnILi256EffNS_5TupleIJfEEEfNS0_12element_wise11PassThroughES8_NS7_7AddReluELNS_25InMemoryDataOperationEnumE0ENS_16TensorDescriptorINS5_IJNS_5EmbedINS5_IJiiiiiEEESD_Lb0EEENS_11PassThroughIiEENS_3PadIiiiLb0EEESI_SI_SG_SG_NSC_INS5_IJiiEEESJ_Lb0EEESK_SK_SG_NS_23Merge_v2_magic_divisionINS5_IJiiiiEEEEESN_NS_8RightPadIiiLb0EEESP_NS_7UnMergeISJ_Lb0EEESG_EEENS5_IJNS_8SequenceIJLi0EEEENST_IJLi1EEEENST_IJLi2EEEENST_IJLi3EEEENST_IJLi4EEEENST_IJLi5EEEENST_IJLi6EEEENST_IJLi7EEEENST_IJLi8EEEENST_IJLi9EEEENST_IJLi10EEEENST_IJLi11ELi13ELi15ELi17EEEENST_IJLi12ELi14ELi16ELi18EEEENST_IJLi19EEEENST_IJLi20EEEENST_IJLi22EEEENST_IJLi21EEEEEEENS5_IJNST_IJLi1ELi2ELi3ELi4ELi5EEEES10_S11_S12_S13_S14_NST_IJLi11EEEENST_IJLi12ELi13EEEENST_IJLi14ELi15EEEENST_IJLi16ELi17EEEENST_IJLi18EEEES17_S18_S1A_S19_NST_IJLi23ELi24EEEENST_IJLi25EEEEEEENST_IJLi23ELi25ELi24EEEElEENSB_INS5_IJSR_SP_SP_SR_SG_EEENS5_IJSU_SV_SW_SY_SX_EEENS5_IJNST_IJLi1ELi2EEEESX_SY_NST_IJLi5ELi6EEEES11_EEENST_IJLi5ELi7ELi6EEEElEENSB_INS5_IJSK_SP_SP_EEENS5_IJSU_SV_SW_EEENS5_IJS1P_SX_SY_EEENST_IJLi3ELi4EEEElEELi128ELi128ELi16ELi1ELi4ELi4ELi1ENST_IJLi8ELi2EEEES1Z_NST_IJLi8ELi1ELi1ELi1EEEENST_IJLi2ELi1ELi128ELi1EEEENST_IJLi1ELi2ELi0ELi3EEEES22_NST_IJLi4ELi1ELi1ELi1EEEES22_NST_IJLi1ELi1ELi1ELi1EEEES20_S21_S22_S22_S23_S22_S24_NST_IJLi0ELi1ELi2ELi3ELi4ELi5EEEELi5ELi4EEEfNS5_IJPKfEEEfS8_S8_S9_NSB_INS5_IJSE_SG_SI_SI_SI_SG_SG_SK_SK_SK_SG_SN_SN_SP_SP_SR_SG_SG_NSQ_INS5_IJiNS_17integral_constantIiLi128EEEEEELb0EEENSF_INS2A_IiLi1EEEEEEEENS5_IJSU_SV_SW_SX_SY_SZ_S10_S11_S12_S13_S14_S15_S16_S17_S18_S19_S1A_NST_IJLi23EEEES1J_NST_IJLi24EEEEEEENS5_IJS1C_S10_S11_S12_S13_S14_S1D_S1E_S1F_S1G_S1H_S17_S18_S1A_S19_S1I_S1J_NST_IJLi26EEEENST_IJLi27ELi28EEEENST_IJLi29EEEEEEENST_IJLi26ELi27ELi28ELi29EEEElEENSB_INS5_IJSR_SP_SP_SR_SG_SG_S2D_S2F_EEENS5_IJSU_SV_SW_SY_SX_SZ_S11_S10_EEENS5_IJS1P_SX_SY_S1Q_S11_S12_NST_IJLi9ELi10EEEES1D_EEENST_IJLi8ELi9ELi10ELi11EEEElEENS5_IJNSB_INS5_IJSK_SP_SP_NSQ_INS5_IJiNS2A_IiLi2EEENS2A_IiLi64EEEEEELb0EEES2Z_EEENS5_IJSU_SV_SW_SX_SY_EEENS5_IJS1P_SX_SY_NST_IJLi5ELi6ELi7EEEENST_IJLi8ELi9ELi10EEEEEEENST_IJLi5ELi6ELi7ELi8ELi9ELi10EEEElEEEEES36_NS_31BlockToCTileMap_M00_N00_M01_N01ILi128ELi128ES1Y_Lb0EEENS1_30ComputePtrOffsetOfStridedBatchILi1ELi1ELi1EvEELb1ELb0EEEvPKT0_S3E_T1_PT2_T3_T4_T5_iT6_T7_T8_T9_T10_T11_
    .private_segment_fixed_size: 704
    .sgpr_count:     102
    .sgpr_spill_count: 0
    .symbol:         _ZN2ck16tensor_operation6device12_GLOBAL__N_137kernel_grouped_conv_fwd_dl_multiple_dINS_32GridwiseGemmDlMultipleD_km_kn_mnILi256EffNS_5TupleIJfEEEfNS0_12element_wise11PassThroughES8_NS7_7AddReluELNS_25InMemoryDataOperationEnumE0ENS_16TensorDescriptorINS5_IJNS_5EmbedINS5_IJiiiiiEEESD_Lb0EEENS_11PassThroughIiEENS_3PadIiiiLb0EEESI_SI_SG_SG_NSC_INS5_IJiiEEESJ_Lb0EEESK_SK_SG_NS_23Merge_v2_magic_divisionINS5_IJiiiiEEEEESN_NS_8RightPadIiiLb0EEESP_NS_7UnMergeISJ_Lb0EEESG_EEENS5_IJNS_8SequenceIJLi0EEEENST_IJLi1EEEENST_IJLi2EEEENST_IJLi3EEEENST_IJLi4EEEENST_IJLi5EEEENST_IJLi6EEEENST_IJLi7EEEENST_IJLi8EEEENST_IJLi9EEEENST_IJLi10EEEENST_IJLi11ELi13ELi15ELi17EEEENST_IJLi12ELi14ELi16ELi18EEEENST_IJLi19EEEENST_IJLi20EEEENST_IJLi22EEEENST_IJLi21EEEEEEENS5_IJNST_IJLi1ELi2ELi3ELi4ELi5EEEES10_S11_S12_S13_S14_NST_IJLi11EEEENST_IJLi12ELi13EEEENST_IJLi14ELi15EEEENST_IJLi16ELi17EEEENST_IJLi18EEEES17_S18_S1A_S19_NST_IJLi23ELi24EEEENST_IJLi25EEEEEEENST_IJLi23ELi25ELi24EEEElEENSB_INS5_IJSR_SP_SP_SR_SG_EEENS5_IJSU_SV_SW_SY_SX_EEENS5_IJNST_IJLi1ELi2EEEESX_SY_NST_IJLi5ELi6EEEES11_EEENST_IJLi5ELi7ELi6EEEElEENSB_INS5_IJSK_SP_SP_EEENS5_IJSU_SV_SW_EEENS5_IJS1P_SX_SY_EEENST_IJLi3ELi4EEEElEELi128ELi128ELi16ELi1ELi4ELi4ELi1ENST_IJLi8ELi2EEEES1Z_NST_IJLi8ELi1ELi1ELi1EEEENST_IJLi2ELi1ELi128ELi1EEEENST_IJLi1ELi2ELi0ELi3EEEES22_NST_IJLi4ELi1ELi1ELi1EEEES22_NST_IJLi1ELi1ELi1ELi1EEEES20_S21_S22_S22_S23_S22_S24_NST_IJLi0ELi1ELi2ELi3ELi4ELi5EEEELi5ELi4EEEfNS5_IJPKfEEEfS8_S8_S9_NSB_INS5_IJSE_SG_SI_SI_SI_SG_SG_SK_SK_SK_SG_SN_SN_SP_SP_SR_SG_SG_NSQ_INS5_IJiNS_17integral_constantIiLi128EEEEEELb0EEENSF_INS2A_IiLi1EEEEEEEENS5_IJSU_SV_SW_SX_SY_SZ_S10_S11_S12_S13_S14_S15_S16_S17_S18_S19_S1A_NST_IJLi23EEEES1J_NST_IJLi24EEEEEEENS5_IJS1C_S10_S11_S12_S13_S14_S1D_S1E_S1F_S1G_S1H_S17_S18_S1A_S19_S1I_S1J_NST_IJLi26EEEENST_IJLi27ELi28EEEENST_IJLi29EEEEEEENST_IJLi26ELi27ELi28ELi29EEEElEENSB_INS5_IJSR_SP_SP_SR_SG_SG_S2D_S2F_EEENS5_IJSU_SV_SW_SY_SX_SZ_S11_S10_EEENS5_IJS1P_SX_SY_S1Q_S11_S12_NST_IJLi9ELi10EEEES1D_EEENST_IJLi8ELi9ELi10ELi11EEEElEENS5_IJNSB_INS5_IJSK_SP_SP_NSQ_INS5_IJiNS2A_IiLi2EEENS2A_IiLi64EEEEEELb0EEES2Z_EEENS5_IJSU_SV_SW_SX_SY_EEENS5_IJS1P_SX_SY_NST_IJLi5ELi6ELi7EEEENST_IJLi8ELi9ELi10EEEEEEENST_IJLi5ELi6ELi7ELi8ELi9ELi10EEEElEEEEES36_NS_31BlockToCTileMap_M00_N00_M01_N01ILi128ELi128ES1Y_Lb0EEENS1_30ComputePtrOffsetOfStridedBatchILi1ELi1ELi1EvEELb1ELb0EEEvPKT0_S3E_T1_PT2_T3_T4_T5_iT6_T7_T8_T9_T10_T11_.kd
    .uniform_work_group_size: 1
    .uses_dynamic_stack: false
    .vgpr_count:     246
    .vgpr_spill_count: 0
    .wavefront_size: 32
    .workgroup_processor_mode: 1
  - .args:
      - .address_space:  global
        .offset:         0
        .size:           8
        .value_kind:     global_buffer
      - .address_space:  global
        .offset:         8
        .size:           8
        .value_kind:     global_buffer
      - .address_space:  global
        .offset:         16
        .size:           8
        .value_kind:     global_buffer
      - .address_space:  global
        .offset:         24
        .size:           8
        .value_kind:     global_buffer
      - .offset:         32
        .size:           1
        .value_kind:     by_value
      - .offset:         33
        .size:           1
        .value_kind:     by_value
      - .offset:         34
        .size:           1
        .value_kind:     by_value
      - .offset:         36
        .size:           4
        .value_kind:     by_value
      - .offset:         40
        .size:           320
        .value_kind:     by_value
      - .offset:         360
        .size:           96
        .value_kind:     by_value
      - .offset:         456
        .size:           80
        .value_kind:     by_value
      - .offset:         536
        .size:           80
        .value_kind:     by_value
      - .offset:         616
        .size:           112
        .value_kind:     by_value
      - .offset:         728
        .size:           40
        .value_kind:     by_value
      - .offset:         768
        .size:           4
        .value_kind:     hidden_block_count_x
      - .offset:         772
        .size:           4
        .value_kind:     hidden_block_count_y
      - .offset:         776
        .size:           4
        .value_kind:     hidden_block_count_z
      - .offset:         780
        .size:           2
        .value_kind:     hidden_group_size_x
      - .offset:         782
        .size:           2
        .value_kind:     hidden_group_size_y
      - .offset:         784
        .size:           2
        .value_kind:     hidden_group_size_z
      - .offset:         786
        .size:           2
        .value_kind:     hidden_remainder_x
      - .offset:         788
        .size:           2
        .value_kind:     hidden_remainder_y
      - .offset:         790
        .size:           2
        .value_kind:     hidden_remainder_z
      - .offset:         808
        .size:           8
        .value_kind:     hidden_global_offset_x
      - .offset:         816
        .size:           8
        .value_kind:     hidden_global_offset_y
      - .offset:         824
        .size:           8
        .value_kind:     hidden_global_offset_z
      - .offset:         832
        .size:           2
        .value_kind:     hidden_grid_dims
    .group_segment_fixed_size: 32768
    .kernarg_segment_align: 8
    .kernarg_segment_size: 1024
    .language:       OpenCL C
    .language_version:
      - 2
      - 0
    .max_flat_workgroup_size: 256
    .name:           _ZN2ck16tensor_operation6device12_GLOBAL__N_137kernel_grouped_conv_fwd_dl_multiple_dINS_32GridwiseGemmDlMultipleD_km_kn_mnILi256EffNS_5TupleIJfEEEfNS0_12element_wise11PassThroughES8_NS7_7AddReluELNS_25InMemoryDataOperationEnumE0ENS_16TensorDescriptorINS5_IJNS_5EmbedINS5_IJiiiiiEEESD_Lb0EEENS_11PassThroughIiEENS_3PadIiiiLb0EEESI_SI_SG_SG_NSC_INS5_IJiiEEESJ_Lb0EEESK_SK_SG_NS_23Merge_v2_magic_divisionINS5_IJiiiiEEEEESN_NS_8RightPadIiiLb0EEESP_NS_7UnMergeISJ_Lb0EEESG_EEENS5_IJNS_8SequenceIJLi0EEEENST_IJLi1EEEENST_IJLi2EEEENST_IJLi3EEEENST_IJLi4EEEENST_IJLi5EEEENST_IJLi6EEEENST_IJLi7EEEENST_IJLi8EEEENST_IJLi9EEEENST_IJLi10EEEENST_IJLi11ELi13ELi15ELi17EEEENST_IJLi12ELi14ELi16ELi18EEEENST_IJLi19EEEENST_IJLi20EEEENST_IJLi22EEEENST_IJLi21EEEEEEENS5_IJNST_IJLi1ELi2ELi3ELi4ELi5EEEES10_S11_S12_S13_S14_NST_IJLi11EEEENST_IJLi12ELi13EEEENST_IJLi14ELi15EEEENST_IJLi16ELi17EEEENST_IJLi18EEEES17_S18_S1A_S19_NST_IJLi23ELi24EEEENST_IJLi25EEEEEEENST_IJLi23ELi25ELi24EEEElEENSB_INS5_IJSR_SP_SP_SR_SG_EEENS5_IJSU_SV_SW_SY_SX_EEENS5_IJNST_IJLi1ELi2EEEESX_SY_NST_IJLi5ELi6EEEES11_EEENST_IJLi5ELi7ELi6EEEElEENSB_INS5_IJSK_SP_SP_EEENS5_IJSU_SV_SW_EEENS5_IJS1P_SX_SY_EEENST_IJLi3ELi4EEEElEELi128ELi128ELi16ELi1ELi4ELi4ELi1ENST_IJLi8ELi2EEEES1Z_NST_IJLi8ELi1ELi1ELi1EEEENST_IJLi2ELi1ELi128ELi1EEEENST_IJLi1ELi2ELi0ELi3EEEES22_NST_IJLi4ELi1ELi1ELi1EEEES22_NST_IJLi1ELi1ELi1ELi1EEEES20_S21_S22_S22_S23_S22_S24_NST_IJLi0ELi1ELi2ELi3ELi4ELi5EEEELi5ELi4EEEfNS5_IJPKfEEEfS8_S8_S9_NSB_INS5_IJSE_SG_SI_SI_SI_SG_SG_SK_SK_SK_SG_SN_SN_SP_SP_SR_SG_SG_NSQ_INS5_IJiNS_17integral_constantIiLi128EEEEEELb0EEENSF_INS2A_IiLi1EEEEEEEENS5_IJSU_SV_SW_SX_SY_SZ_S10_S11_S12_S13_S14_S15_S16_S17_S18_S19_S1A_NST_IJLi23EEEES1J_NST_IJLi24EEEEEEENS5_IJS1C_S10_S11_S12_S13_S14_S1D_S1E_S1F_S1G_S1H_S17_S18_S1A_S19_S1I_S1J_NST_IJLi26EEEENST_IJLi27ELi28EEEENST_IJLi29EEEEEEENST_IJLi26ELi27ELi28ELi29EEEElEENSB_INS5_IJSR_SP_SP_SR_SG_SG_S2D_S2F_EEENS5_IJSU_SV_SW_SY_SX_SZ_S11_S10_EEENS5_IJS1P_SX_SY_S1Q_S11_S12_NST_IJLi9ELi10EEEES1D_EEENST_IJLi8ELi9ELi10ELi11EEEElEENS5_IJNSB_INS5_IJSK_SP_SP_NSQ_INS5_IJiNS2A_IiLi2EEENS2A_IiLi64EEEEEELb0EEES2Z_EEENS5_IJSU_SV_SW_SX_SY_EEENS5_IJS1P_SX_SY_NST_IJLi5ELi6ELi7EEEENST_IJLi8ELi9ELi10EEEEEEENST_IJLi5ELi6ELi7ELi8ELi9ELi10EEEElEEEEES36_NS_31BlockToCTileMap_M00_N00_M01_N01ILi128ELi128ES1Y_Lb0EEENS1_30ComputePtrOffsetOfStridedBatchILi1ELi1ELi1EvEELb0ELb1EEEvPKT0_S3E_T1_PT2_T3_T4_T5_iT6_T7_T8_T9_T10_T11_
    .private_segment_fixed_size: 0
    .sgpr_count:     78
    .sgpr_spill_count: 0
    .symbol:         _ZN2ck16tensor_operation6device12_GLOBAL__N_137kernel_grouped_conv_fwd_dl_multiple_dINS_32GridwiseGemmDlMultipleD_km_kn_mnILi256EffNS_5TupleIJfEEEfNS0_12element_wise11PassThroughES8_NS7_7AddReluELNS_25InMemoryDataOperationEnumE0ENS_16TensorDescriptorINS5_IJNS_5EmbedINS5_IJiiiiiEEESD_Lb0EEENS_11PassThroughIiEENS_3PadIiiiLb0EEESI_SI_SG_SG_NSC_INS5_IJiiEEESJ_Lb0EEESK_SK_SG_NS_23Merge_v2_magic_divisionINS5_IJiiiiEEEEESN_NS_8RightPadIiiLb0EEESP_NS_7UnMergeISJ_Lb0EEESG_EEENS5_IJNS_8SequenceIJLi0EEEENST_IJLi1EEEENST_IJLi2EEEENST_IJLi3EEEENST_IJLi4EEEENST_IJLi5EEEENST_IJLi6EEEENST_IJLi7EEEENST_IJLi8EEEENST_IJLi9EEEENST_IJLi10EEEENST_IJLi11ELi13ELi15ELi17EEEENST_IJLi12ELi14ELi16ELi18EEEENST_IJLi19EEEENST_IJLi20EEEENST_IJLi22EEEENST_IJLi21EEEEEEENS5_IJNST_IJLi1ELi2ELi3ELi4ELi5EEEES10_S11_S12_S13_S14_NST_IJLi11EEEENST_IJLi12ELi13EEEENST_IJLi14ELi15EEEENST_IJLi16ELi17EEEENST_IJLi18EEEES17_S18_S1A_S19_NST_IJLi23ELi24EEEENST_IJLi25EEEEEEENST_IJLi23ELi25ELi24EEEElEENSB_INS5_IJSR_SP_SP_SR_SG_EEENS5_IJSU_SV_SW_SY_SX_EEENS5_IJNST_IJLi1ELi2EEEESX_SY_NST_IJLi5ELi6EEEES11_EEENST_IJLi5ELi7ELi6EEEElEENSB_INS5_IJSK_SP_SP_EEENS5_IJSU_SV_SW_EEENS5_IJS1P_SX_SY_EEENST_IJLi3ELi4EEEElEELi128ELi128ELi16ELi1ELi4ELi4ELi1ENST_IJLi8ELi2EEEES1Z_NST_IJLi8ELi1ELi1ELi1EEEENST_IJLi2ELi1ELi128ELi1EEEENST_IJLi1ELi2ELi0ELi3EEEES22_NST_IJLi4ELi1ELi1ELi1EEEES22_NST_IJLi1ELi1ELi1ELi1EEEES20_S21_S22_S22_S23_S22_S24_NST_IJLi0ELi1ELi2ELi3ELi4ELi5EEEELi5ELi4EEEfNS5_IJPKfEEEfS8_S8_S9_NSB_INS5_IJSE_SG_SI_SI_SI_SG_SG_SK_SK_SK_SG_SN_SN_SP_SP_SR_SG_SG_NSQ_INS5_IJiNS_17integral_constantIiLi128EEEEEELb0EEENSF_INS2A_IiLi1EEEEEEEENS5_IJSU_SV_SW_SX_SY_SZ_S10_S11_S12_S13_S14_S15_S16_S17_S18_S19_S1A_NST_IJLi23EEEES1J_NST_IJLi24EEEEEEENS5_IJS1C_S10_S11_S12_S13_S14_S1D_S1E_S1F_S1G_S1H_S17_S18_S1A_S19_S1I_S1J_NST_IJLi26EEEENST_IJLi27ELi28EEEENST_IJLi29EEEEEEENST_IJLi26ELi27ELi28ELi29EEEElEENSB_INS5_IJSR_SP_SP_SR_SG_SG_S2D_S2F_EEENS5_IJSU_SV_SW_SY_SX_SZ_S11_S10_EEENS5_IJS1P_SX_SY_S1Q_S11_S12_NST_IJLi9ELi10EEEES1D_EEENST_IJLi8ELi9ELi10ELi11EEEElEENS5_IJNSB_INS5_IJSK_SP_SP_NSQ_INS5_IJiNS2A_IiLi2EEENS2A_IiLi64EEEEEELb0EEES2Z_EEENS5_IJSU_SV_SW_SX_SY_EEENS5_IJS1P_SX_SY_NST_IJLi5ELi6ELi7EEEENST_IJLi8ELi9ELi10EEEEEEENST_IJLi5ELi6ELi7ELi8ELi9ELi10EEEElEEEEES36_NS_31BlockToCTileMap_M00_N00_M01_N01ILi128ELi128ES1Y_Lb0EEENS1_30ComputePtrOffsetOfStridedBatchILi1ELi1ELi1EvEELb0ELb1EEEvPKT0_S3E_T1_PT2_T3_T4_T5_iT6_T7_T8_T9_T10_T11_.kd
    .uniform_work_group_size: 1
    .uses_dynamic_stack: false
    .vgpr_count:     133
    .vgpr_spill_count: 0
    .wavefront_size: 32
    .workgroup_processor_mode: 1
  - .args:
      - .address_space:  global
        .offset:         0
        .size:           8
        .value_kind:     global_buffer
      - .address_space:  global
        .offset:         8
        .size:           8
        .value_kind:     global_buffer
      - .address_space:  global
        .offset:         16
        .size:           8
        .value_kind:     global_buffer
      - .address_space:  global
        .offset:         24
        .size:           8
        .value_kind:     global_buffer
      - .offset:         32
        .size:           1
        .value_kind:     by_value
      - .offset:         33
        .size:           1
        .value_kind:     by_value
      - .offset:         34
        .size:           1
        .value_kind:     by_value
      - .offset:         36
        .size:           4
        .value_kind:     by_value
      - .offset:         40
        .size:           320
        .value_kind:     by_value
      - .offset:         360
        .size:           96
        .value_kind:     by_value
      - .offset:         456
        .size:           80
        .value_kind:     by_value
      - .offset:         536
        .size:           80
        .value_kind:     by_value
      - .offset:         616
        .size:           112
        .value_kind:     by_value
      - .offset:         728
        .size:           40
        .value_kind:     by_value
      - .offset:         768
        .size:           4
        .value_kind:     hidden_block_count_x
      - .offset:         772
        .size:           4
        .value_kind:     hidden_block_count_y
      - .offset:         776
        .size:           4
        .value_kind:     hidden_block_count_z
      - .offset:         780
        .size:           2
        .value_kind:     hidden_group_size_x
      - .offset:         782
        .size:           2
        .value_kind:     hidden_group_size_y
      - .offset:         784
        .size:           2
        .value_kind:     hidden_group_size_z
      - .offset:         786
        .size:           2
        .value_kind:     hidden_remainder_x
      - .offset:         788
        .size:           2
        .value_kind:     hidden_remainder_y
      - .offset:         790
        .size:           2
        .value_kind:     hidden_remainder_z
      - .offset:         808
        .size:           8
        .value_kind:     hidden_global_offset_x
      - .offset:         816
        .size:           8
        .value_kind:     hidden_global_offset_y
      - .offset:         824
        .size:           8
        .value_kind:     hidden_global_offset_z
      - .offset:         832
        .size:           2
        .value_kind:     hidden_grid_dims
    .group_segment_fixed_size: 32768
    .kernarg_segment_align: 8
    .kernarg_segment_size: 1024
    .language:       OpenCL C
    .language_version:
      - 2
      - 0
    .max_flat_workgroup_size: 256
    .name:           _ZN2ck16tensor_operation6device12_GLOBAL__N_137kernel_grouped_conv_fwd_dl_multiple_dINS_32GridwiseGemmDlMultipleD_km_kn_mnILi256EffNS_5TupleIJfEEEfNS0_12element_wise11PassThroughES8_NS7_7AddReluELNS_25InMemoryDataOperationEnumE0ENS_16TensorDescriptorINS5_IJNS_5EmbedINS5_IJiiiiiEEESD_Lb0EEENS_11PassThroughIiEENS_3PadIiiiLb0EEESI_SI_SG_SG_NSC_INS5_IJiiEEESJ_Lb0EEESK_SK_SG_NS_23Merge_v2_magic_divisionINS5_IJiiiiEEEEESN_NS_8RightPadIiiLb0EEESP_NS_7UnMergeISJ_Lb0EEESG_EEENS5_IJNS_8SequenceIJLi0EEEENST_IJLi1EEEENST_IJLi2EEEENST_IJLi3EEEENST_IJLi4EEEENST_IJLi5EEEENST_IJLi6EEEENST_IJLi7EEEENST_IJLi8EEEENST_IJLi9EEEENST_IJLi10EEEENST_IJLi11ELi13ELi15ELi17EEEENST_IJLi12ELi14ELi16ELi18EEEENST_IJLi19EEEENST_IJLi20EEEENST_IJLi22EEEENST_IJLi21EEEEEEENS5_IJNST_IJLi1ELi2ELi3ELi4ELi5EEEES10_S11_S12_S13_S14_NST_IJLi11EEEENST_IJLi12ELi13EEEENST_IJLi14ELi15EEEENST_IJLi16ELi17EEEENST_IJLi18EEEES17_S18_S1A_S19_NST_IJLi23ELi24EEEENST_IJLi25EEEEEEENST_IJLi23ELi25ELi24EEEElEENSB_INS5_IJSR_SP_SP_SR_SG_EEENS5_IJSU_SV_SW_SY_SX_EEENS5_IJNST_IJLi1ELi2EEEESX_SY_NST_IJLi5ELi6EEEES11_EEENST_IJLi5ELi7ELi6EEEElEENSB_INS5_IJSK_SP_SP_EEENS5_IJSU_SV_SW_EEENS5_IJS1P_SX_SY_EEENST_IJLi3ELi4EEEElEELi128ELi128ELi16ELi1ELi4ELi4ELi1ENST_IJLi8ELi2EEEES1Z_NST_IJLi8ELi1ELi1ELi1EEEENST_IJLi2ELi1ELi128ELi1EEEENST_IJLi1ELi2ELi0ELi3EEEES22_NST_IJLi4ELi1ELi1ELi1EEEES22_NST_IJLi1ELi1ELi1ELi1EEEES20_S21_S22_S22_S23_S22_S24_NST_IJLi0ELi1ELi2ELi3ELi4ELi5EEEELi5ELi4EEEfNS5_IJPKfEEEfS8_S8_S9_NSB_INS5_IJSE_SG_SI_SI_SI_SG_SG_SK_SK_SK_SG_SN_SN_SP_SP_SR_SG_SG_NSQ_INS5_IJiNS_17integral_constantIiLi128EEEEEELb0EEENSF_INS2A_IiLi1EEEEEEEENS5_IJSU_SV_SW_SX_SY_SZ_S10_S11_S12_S13_S14_S15_S16_S17_S18_S19_S1A_NST_IJLi23EEEES1J_NST_IJLi24EEEEEEENS5_IJS1C_S10_S11_S12_S13_S14_S1D_S1E_S1F_S1G_S1H_S17_S18_S1A_S19_S1I_S1J_NST_IJLi26EEEENST_IJLi27ELi28EEEENST_IJLi29EEEEEEENST_IJLi26ELi27ELi28ELi29EEEElEENSB_INS5_IJSR_SP_SP_SR_SG_SG_S2D_S2F_EEENS5_IJSU_SV_SW_SY_SX_SZ_S11_S10_EEENS5_IJS1P_SX_SY_S1Q_S11_S12_NST_IJLi9ELi10EEEES1D_EEENST_IJLi8ELi9ELi10ELi11EEEElEENS5_IJNSB_INS5_IJSK_SP_SP_NSQ_INS5_IJiNS2A_IiLi2EEENS2A_IiLi64EEEEEELb0EEES2Z_EEENS5_IJSU_SV_SW_SX_SY_EEENS5_IJS1P_SX_SY_NST_IJLi5ELi6ELi7EEEENST_IJLi8ELi9ELi10EEEEEEENST_IJLi5ELi6ELi7ELi8ELi9ELi10EEEElEEEEES36_NS_31BlockToCTileMap_M00_N00_M01_N01ILi128ELi128ES1Y_Lb0EEENS1_30ComputePtrOffsetOfStridedBatchILi1ELi1ELi1EvEELb0ELb0EEEvPKT0_S3E_T1_PT2_T3_T4_T5_iT6_T7_T8_T9_T10_T11_
    .private_segment_fixed_size: 0
    .sgpr_count:     70
    .sgpr_spill_count: 0
    .symbol:         _ZN2ck16tensor_operation6device12_GLOBAL__N_137kernel_grouped_conv_fwd_dl_multiple_dINS_32GridwiseGemmDlMultipleD_km_kn_mnILi256EffNS_5TupleIJfEEEfNS0_12element_wise11PassThroughES8_NS7_7AddReluELNS_25InMemoryDataOperationEnumE0ENS_16TensorDescriptorINS5_IJNS_5EmbedINS5_IJiiiiiEEESD_Lb0EEENS_11PassThroughIiEENS_3PadIiiiLb0EEESI_SI_SG_SG_NSC_INS5_IJiiEEESJ_Lb0EEESK_SK_SG_NS_23Merge_v2_magic_divisionINS5_IJiiiiEEEEESN_NS_8RightPadIiiLb0EEESP_NS_7UnMergeISJ_Lb0EEESG_EEENS5_IJNS_8SequenceIJLi0EEEENST_IJLi1EEEENST_IJLi2EEEENST_IJLi3EEEENST_IJLi4EEEENST_IJLi5EEEENST_IJLi6EEEENST_IJLi7EEEENST_IJLi8EEEENST_IJLi9EEEENST_IJLi10EEEENST_IJLi11ELi13ELi15ELi17EEEENST_IJLi12ELi14ELi16ELi18EEEENST_IJLi19EEEENST_IJLi20EEEENST_IJLi22EEEENST_IJLi21EEEEEEENS5_IJNST_IJLi1ELi2ELi3ELi4ELi5EEEES10_S11_S12_S13_S14_NST_IJLi11EEEENST_IJLi12ELi13EEEENST_IJLi14ELi15EEEENST_IJLi16ELi17EEEENST_IJLi18EEEES17_S18_S1A_S19_NST_IJLi23ELi24EEEENST_IJLi25EEEEEEENST_IJLi23ELi25ELi24EEEElEENSB_INS5_IJSR_SP_SP_SR_SG_EEENS5_IJSU_SV_SW_SY_SX_EEENS5_IJNST_IJLi1ELi2EEEESX_SY_NST_IJLi5ELi6EEEES11_EEENST_IJLi5ELi7ELi6EEEElEENSB_INS5_IJSK_SP_SP_EEENS5_IJSU_SV_SW_EEENS5_IJS1P_SX_SY_EEENST_IJLi3ELi4EEEElEELi128ELi128ELi16ELi1ELi4ELi4ELi1ENST_IJLi8ELi2EEEES1Z_NST_IJLi8ELi1ELi1ELi1EEEENST_IJLi2ELi1ELi128ELi1EEEENST_IJLi1ELi2ELi0ELi3EEEES22_NST_IJLi4ELi1ELi1ELi1EEEES22_NST_IJLi1ELi1ELi1ELi1EEEES20_S21_S22_S22_S23_S22_S24_NST_IJLi0ELi1ELi2ELi3ELi4ELi5EEEELi5ELi4EEEfNS5_IJPKfEEEfS8_S8_S9_NSB_INS5_IJSE_SG_SI_SI_SI_SG_SG_SK_SK_SK_SG_SN_SN_SP_SP_SR_SG_SG_NSQ_INS5_IJiNS_17integral_constantIiLi128EEEEEELb0EEENSF_INS2A_IiLi1EEEEEEEENS5_IJSU_SV_SW_SX_SY_SZ_S10_S11_S12_S13_S14_S15_S16_S17_S18_S19_S1A_NST_IJLi23EEEES1J_NST_IJLi24EEEEEEENS5_IJS1C_S10_S11_S12_S13_S14_S1D_S1E_S1F_S1G_S1H_S17_S18_S1A_S19_S1I_S1J_NST_IJLi26EEEENST_IJLi27ELi28EEEENST_IJLi29EEEEEEENST_IJLi26ELi27ELi28ELi29EEEElEENSB_INS5_IJSR_SP_SP_SR_SG_SG_S2D_S2F_EEENS5_IJSU_SV_SW_SY_SX_SZ_S11_S10_EEENS5_IJS1P_SX_SY_S1Q_S11_S12_NST_IJLi9ELi10EEEES1D_EEENST_IJLi8ELi9ELi10ELi11EEEElEENS5_IJNSB_INS5_IJSK_SP_SP_NSQ_INS5_IJiNS2A_IiLi2EEENS2A_IiLi64EEEEEELb0EEES2Z_EEENS5_IJSU_SV_SW_SX_SY_EEENS5_IJS1P_SX_SY_NST_IJLi5ELi6ELi7EEEENST_IJLi8ELi9ELi10EEEEEEENST_IJLi5ELi6ELi7ELi8ELi9ELi10EEEElEEEEES36_NS_31BlockToCTileMap_M00_N00_M01_N01ILi128ELi128ES1Y_Lb0EEENS1_30ComputePtrOffsetOfStridedBatchILi1ELi1ELi1EvEELb0ELb0EEEvPKT0_S3E_T1_PT2_T3_T4_T5_iT6_T7_T8_T9_T10_T11_.kd
    .uniform_work_group_size: 1
    .uses_dynamic_stack: false
    .vgpr_count:     132
    .vgpr_spill_count: 0
    .wavefront_size: 32
    .workgroup_processor_mode: 1
amdhsa.target:   amdgcn-amd-amdhsa--gfx1100
amdhsa.version:
  - 1
  - 2
...

	.end_amdgpu_metadata
